;; amdgpu-corpus repo=ROCm/rocFFT kind=compiled arch=gfx906 opt=O3
	.text
	.amdgcn_target "amdgcn-amd-amdhsa--gfx906"
	.amdhsa_code_object_version 6
	.protected	fft_rtc_fwd_len2401_factors_7_7_7_7_wgs_49_tpt_49_halfLds_dp_op_CI_CI_sbrr_dirReg ; -- Begin function fft_rtc_fwd_len2401_factors_7_7_7_7_wgs_49_tpt_49_halfLds_dp_op_CI_CI_sbrr_dirReg
	.globl	fft_rtc_fwd_len2401_factors_7_7_7_7_wgs_49_tpt_49_halfLds_dp_op_CI_CI_sbrr_dirReg
	.p2align	8
	.type	fft_rtc_fwd_len2401_factors_7_7_7_7_wgs_49_tpt_49_halfLds_dp_op_CI_CI_sbrr_dirReg,@function
fft_rtc_fwd_len2401_factors_7_7_7_7_wgs_49_tpt_49_halfLds_dp_op_CI_CI_sbrr_dirReg: ; @fft_rtc_fwd_len2401_factors_7_7_7_7_wgs_49_tpt_49_halfLds_dp_op_CI_CI_sbrr_dirReg
; %bb.0:
	s_load_dwordx4 s[16:19], s[4:5], 0x18
	s_load_dwordx4 s[12:15], s[4:5], 0x0
	;; [unrolled: 1-line block ×3, first 2 shown]
	s_mov_b64 s[38:39], s[2:3]
	s_mov_b64 s[36:37], s[0:1]
	s_waitcnt lgkmcnt(0)
	s_load_dwordx2 s[20:21], s[16:17], 0x0
	s_load_dwordx2 s[2:3], s[18:19], 0x0
	v_mul_u32_u24_e32 v1, 0x53a, v0
	v_cmp_lt_u64_e64 s[0:1], s[14:15], 2
	s_add_u32 s36, s36, s7
	v_add_u32_sdwa v6, s6, v1 dst_sel:DWORD dst_unused:UNUSED_PAD src0_sel:DWORD src1_sel:WORD_1
	v_mov_b32_e32 v1, 0
	v_mov_b32_e32 v4, 0
	s_addc_u32 s37, s37, 0
	v_mov_b32_e32 v7, v1
	s_and_b64 vcc, exec, s[0:1]
	v_mov_b32_e32 v5, 0
	s_cbranch_vccnz .LBB0_8
; %bb.1:
	s_load_dwordx2 s[0:1], s[4:5], 0x10
	s_add_u32 s6, s18, 8
	s_addc_u32 s7, s19, 0
	s_add_u32 s22, s16, 8
	v_mov_b32_e32 v4, 0
	s_addc_u32 s23, s17, 0
	v_mov_b32_e32 v5, 0
	s_waitcnt lgkmcnt(0)
	s_add_u32 s24, s0, 8
	v_mov_b32_e32 v197, v5
	s_addc_u32 s25, s1, 0
	s_mov_b64 s[26:27], 1
	v_mov_b32_e32 v196, v4
.LBB0_2:                                ; =>This Inner Loop Header: Depth=1
	s_load_dwordx2 s[28:29], s[24:25], 0x0
                                        ; implicit-def: $vgpr198_vgpr199
	s_waitcnt lgkmcnt(0)
	v_or_b32_e32 v2, s29, v7
	v_cmp_ne_u64_e32 vcc, 0, v[1:2]
	s_and_saveexec_b64 s[0:1], vcc
	s_xor_b64 s[30:31], exec, s[0:1]
	s_cbranch_execz .LBB0_4
; %bb.3:                                ;   in Loop: Header=BB0_2 Depth=1
	v_cvt_f32_u32_e32 v2, s28
	v_cvt_f32_u32_e32 v3, s29
	s_sub_u32 s0, 0, s28
	s_subb_u32 s1, 0, s29
	v_mac_f32_e32 v2, 0x4f800000, v3
	v_rcp_f32_e32 v2, v2
	v_mul_f32_e32 v2, 0x5f7ffffc, v2
	v_mul_f32_e32 v3, 0x2f800000, v2
	v_trunc_f32_e32 v3, v3
	v_mac_f32_e32 v2, 0xcf800000, v3
	v_cvt_u32_f32_e32 v3, v3
	v_cvt_u32_f32_e32 v2, v2
	v_mul_lo_u32 v8, s0, v3
	v_mul_hi_u32 v9, s0, v2
	v_mul_lo_u32 v11, s1, v2
	v_mul_lo_u32 v10, s0, v2
	v_add_u32_e32 v8, v9, v8
	v_add_u32_e32 v8, v8, v11
	v_mul_hi_u32 v9, v2, v10
	v_mul_lo_u32 v11, v2, v8
	v_mul_hi_u32 v13, v2, v8
	v_mul_hi_u32 v12, v3, v10
	v_mul_lo_u32 v10, v3, v10
	v_mul_hi_u32 v14, v3, v8
	v_add_co_u32_e32 v9, vcc, v9, v11
	v_addc_co_u32_e32 v11, vcc, 0, v13, vcc
	v_mul_lo_u32 v8, v3, v8
	v_add_co_u32_e32 v9, vcc, v9, v10
	v_addc_co_u32_e32 v9, vcc, v11, v12, vcc
	v_addc_co_u32_e32 v10, vcc, 0, v14, vcc
	v_add_co_u32_e32 v8, vcc, v9, v8
	v_addc_co_u32_e32 v9, vcc, 0, v10, vcc
	v_add_co_u32_e32 v2, vcc, v2, v8
	v_addc_co_u32_e32 v3, vcc, v3, v9, vcc
	v_mul_lo_u32 v8, s0, v3
	v_mul_hi_u32 v9, s0, v2
	v_mul_lo_u32 v10, s1, v2
	v_mul_lo_u32 v11, s0, v2
	v_add_u32_e32 v8, v9, v8
	v_add_u32_e32 v8, v8, v10
	v_mul_lo_u32 v12, v2, v8
	v_mul_hi_u32 v13, v2, v11
	v_mul_hi_u32 v14, v2, v8
	;; [unrolled: 1-line block ×3, first 2 shown]
	v_mul_lo_u32 v11, v3, v11
	v_mul_hi_u32 v9, v3, v8
	v_add_co_u32_e32 v12, vcc, v13, v12
	v_addc_co_u32_e32 v13, vcc, 0, v14, vcc
	v_mul_lo_u32 v8, v3, v8
	v_add_co_u32_e32 v11, vcc, v12, v11
	v_addc_co_u32_e32 v10, vcc, v13, v10, vcc
	v_addc_co_u32_e32 v9, vcc, 0, v9, vcc
	v_add_co_u32_e32 v8, vcc, v10, v8
	v_addc_co_u32_e32 v9, vcc, 0, v9, vcc
	v_add_co_u32_e32 v8, vcc, v2, v8
	v_addc_co_u32_e32 v9, vcc, v3, v9, vcc
	v_mad_u64_u32 v[2:3], s[0:1], v6, v9, 0
	v_mul_hi_u32 v10, v6, v8
	v_add_co_u32_e32 v10, vcc, v10, v2
	v_addc_co_u32_e32 v11, vcc, 0, v3, vcc
	v_mad_u64_u32 v[2:3], s[0:1], v7, v8, 0
	v_mad_u64_u32 v[8:9], s[0:1], v7, v9, 0
	v_add_co_u32_e32 v2, vcc, v10, v2
	v_addc_co_u32_e32 v2, vcc, v11, v3, vcc
	v_addc_co_u32_e32 v3, vcc, 0, v9, vcc
	v_add_co_u32_e32 v8, vcc, v2, v8
	v_addc_co_u32_e32 v9, vcc, 0, v3, vcc
	v_mul_lo_u32 v10, s29, v8
	v_mul_lo_u32 v11, s28, v9
	v_mad_u64_u32 v[2:3], s[0:1], s28, v8, 0
	v_add3_u32 v3, v3, v11, v10
	v_sub_u32_e32 v10, v7, v3
	v_mov_b32_e32 v11, s29
	v_sub_co_u32_e32 v2, vcc, v6, v2
	v_subb_co_u32_e64 v10, s[0:1], v10, v11, vcc
	v_subrev_co_u32_e64 v11, s[0:1], s28, v2
	v_subbrev_co_u32_e64 v10, s[0:1], 0, v10, s[0:1]
	v_cmp_le_u32_e64 s[0:1], s29, v10
	v_cndmask_b32_e64 v12, 0, -1, s[0:1]
	v_cmp_le_u32_e64 s[0:1], s28, v11
	v_cndmask_b32_e64 v11, 0, -1, s[0:1]
	v_cmp_eq_u32_e64 s[0:1], s29, v10
	v_cndmask_b32_e64 v10, v12, v11, s[0:1]
	v_add_co_u32_e64 v11, s[0:1], 2, v8
	v_addc_co_u32_e64 v12, s[0:1], 0, v9, s[0:1]
	v_add_co_u32_e64 v13, s[0:1], 1, v8
	v_addc_co_u32_e64 v14, s[0:1], 0, v9, s[0:1]
	v_subb_co_u32_e32 v3, vcc, v7, v3, vcc
	v_cmp_ne_u32_e64 s[0:1], 0, v10
	v_cmp_le_u32_e32 vcc, s29, v3
	v_cndmask_b32_e64 v10, v14, v12, s[0:1]
	v_cndmask_b32_e64 v12, 0, -1, vcc
	v_cmp_le_u32_e32 vcc, s28, v2
	v_cndmask_b32_e64 v2, 0, -1, vcc
	v_cmp_eq_u32_e32 vcc, s29, v3
	v_cndmask_b32_e32 v2, v12, v2, vcc
	v_cmp_ne_u32_e32 vcc, 0, v2
	v_cndmask_b32_e64 v2, v13, v11, s[0:1]
	v_cndmask_b32_e32 v199, v9, v10, vcc
	v_cndmask_b32_e32 v198, v8, v2, vcc
.LBB0_4:                                ;   in Loop: Header=BB0_2 Depth=1
	s_andn2_saveexec_b64 s[0:1], s[30:31]
	s_cbranch_execz .LBB0_6
; %bb.5:                                ;   in Loop: Header=BB0_2 Depth=1
	v_cvt_f32_u32_e32 v2, s28
	s_sub_i32 s30, 0, s28
	v_mov_b32_e32 v199, v1
	v_rcp_iflag_f32_e32 v2, v2
	v_mul_f32_e32 v2, 0x4f7ffffe, v2
	v_cvt_u32_f32_e32 v2, v2
	v_mul_lo_u32 v3, s30, v2
	v_mul_hi_u32 v3, v2, v3
	v_add_u32_e32 v2, v2, v3
	v_mul_hi_u32 v2, v6, v2
	v_mul_lo_u32 v3, v2, s28
	v_add_u32_e32 v8, 1, v2
	v_sub_u32_e32 v3, v6, v3
	v_subrev_u32_e32 v9, s28, v3
	v_cmp_le_u32_e32 vcc, s28, v3
	v_cndmask_b32_e32 v3, v3, v9, vcc
	v_cndmask_b32_e32 v2, v2, v8, vcc
	v_add_u32_e32 v8, 1, v2
	v_cmp_le_u32_e32 vcc, s28, v3
	v_cndmask_b32_e32 v198, v2, v8, vcc
.LBB0_6:                                ;   in Loop: Header=BB0_2 Depth=1
	s_or_b64 exec, exec, s[0:1]
	v_mul_lo_u32 v8, v199, s28
	v_mul_lo_u32 v9, v198, s29
	v_mad_u64_u32 v[2:3], s[0:1], v198, s28, 0
	s_load_dwordx2 s[0:1], s[22:23], 0x0
	s_load_dwordx2 s[28:29], s[6:7], 0x0
	v_add3_u32 v3, v3, v9, v8
	v_sub_co_u32_e32 v2, vcc, v6, v2
	v_subb_co_u32_e32 v3, vcc, v7, v3, vcc
	s_waitcnt lgkmcnt(0)
	v_mul_lo_u32 v6, s0, v3
	v_mul_lo_u32 v7, s1, v2
	v_mad_u64_u32 v[4:5], s[0:1], s0, v2, v[4:5]
	v_mul_lo_u32 v3, s28, v3
	v_mul_lo_u32 v8, s29, v2
	v_mad_u64_u32 v[196:197], s[0:1], s28, v2, v[196:197]
	s_add_u32 s26, s26, 1
	s_addc_u32 s27, s27, 0
	s_add_u32 s6, s6, 8
	v_add3_u32 v197, v8, v197, v3
	s_addc_u32 s7, s7, 0
	v_mov_b32_e32 v2, s14
	s_add_u32 s22, s22, 8
	v_mov_b32_e32 v3, s15
	s_addc_u32 s23, s23, 0
	v_cmp_ge_u64_e32 vcc, s[26:27], v[2:3]
	s_add_u32 s24, s24, 8
	v_add3_u32 v5, v7, v5, v6
	s_addc_u32 s25, s25, 0
	s_cbranch_vccnz .LBB0_9
; %bb.7:                                ;   in Loop: Header=BB0_2 Depth=1
	v_mov_b32_e32 v6, v198
	v_mov_b32_e32 v7, v199
	s_branch .LBB0_2
.LBB0_8:
	v_mov_b32_e32 v197, v5
	v_mov_b32_e32 v199, v7
	;; [unrolled: 1-line block ×4, first 2 shown]
.LBB0_9:
	s_load_dwordx2 s[0:1], s[4:5], 0x28
	s_lshl_b64 s[6:7], s[14:15], 3
	s_add_u32 s26, s18, s6
	s_addc_u32 s27, s19, s7
                                        ; implicit-def: $vgpr204
                                        ; implicit-def: $vgpr249
                                        ; implicit-def: $vgpr205
                                        ; implicit-def: $vgpr207
                                        ; implicit-def: $vgpr208
                                        ; implicit-def: $vgpr209
                                        ; implicit-def: $vgpr214
	s_waitcnt lgkmcnt(0)
	v_cmp_gt_u64_e32 vcc, s[0:1], v[198:199]
	v_cmp_le_u64_e64 s[0:1], s[0:1], v[198:199]
	s_and_saveexec_b64 s[4:5], s[0:1]
	s_xor_b64 s[0:1], exec, s[4:5]
; %bb.10:
	s_mov_b32 s4, 0x539782a
	v_mul_hi_u32 v1, v0, s4
                                        ; implicit-def: $vgpr4_vgpr5
	v_mul_u32_u24_e32 v1, 49, v1
	v_sub_u32_e32 v204, v0, v1
	v_add_u32_e32 v249, 49, v204
	v_add_u32_e32 v205, 0x62, v204
	;; [unrolled: 1-line block ×6, first 2 shown]
                                        ; implicit-def: $vgpr0
; %bb.11:
	s_or_saveexec_b64 s[4:5], s[0:1]
                                        ; implicit-def: $vgpr26_vgpr27
                                        ; implicit-def: $vgpr18_vgpr19
                                        ; implicit-def: $vgpr10_vgpr11
                                        ; implicit-def: $vgpr6_vgpr7
                                        ; implicit-def: $vgpr14_vgpr15
                                        ; implicit-def: $vgpr22_vgpr23
                                        ; implicit-def: $vgpr2_vgpr3
                                        ; implicit-def: $vgpr54_vgpr55
                                        ; implicit-def: $vgpr46_vgpr47
                                        ; implicit-def: $vgpr38_vgpr39
                                        ; implicit-def: $vgpr34_vgpr35
                                        ; implicit-def: $vgpr42_vgpr43
                                        ; implicit-def: $vgpr50_vgpr51
                                        ; implicit-def: $vgpr30_vgpr31
                                        ; implicit-def: $vgpr82_vgpr83
                                        ; implicit-def: $vgpr74_vgpr75
                                        ; implicit-def: $vgpr66_vgpr67
                                        ; implicit-def: $vgpr62_vgpr63
                                        ; implicit-def: $vgpr70_vgpr71
                                        ; implicit-def: $vgpr78_vgpr79
                                        ; implicit-def: $vgpr58_vgpr59
                                        ; implicit-def: $vgpr110_vgpr111
                                        ; implicit-def: $vgpr102_vgpr103
                                        ; implicit-def: $vgpr94_vgpr95
                                        ; implicit-def: $vgpr90_vgpr91
                                        ; implicit-def: $vgpr98_vgpr99
                                        ; implicit-def: $vgpr106_vgpr107
                                        ; implicit-def: $vgpr86_vgpr87
                                        ; implicit-def: $vgpr138_vgpr139
                                        ; implicit-def: $vgpr130_vgpr131
                                        ; implicit-def: $vgpr122_vgpr123
                                        ; implicit-def: $vgpr118_vgpr119
                                        ; implicit-def: $vgpr126_vgpr127
                                        ; implicit-def: $vgpr134_vgpr135
                                        ; implicit-def: $vgpr114_vgpr115
                                        ; implicit-def: $vgpr166_vgpr167
                                        ; implicit-def: $vgpr158_vgpr159
                                        ; implicit-def: $vgpr150_vgpr151
                                        ; implicit-def: $vgpr146_vgpr147
                                        ; implicit-def: $vgpr154_vgpr155
                                        ; implicit-def: $vgpr162_vgpr163
                                        ; implicit-def: $vgpr142_vgpr143
                                        ; implicit-def: $vgpr194_vgpr195
                                        ; implicit-def: $vgpr190_vgpr191
                                        ; implicit-def: $vgpr182_vgpr183
                                        ; implicit-def: $vgpr178_vgpr179
                                        ; implicit-def: $vgpr186_vgpr187
                                        ; implicit-def: $vgpr174_vgpr175
                                        ; implicit-def: $vgpr170_vgpr171
	s_xor_b64 exec, exec, s[4:5]
	s_cbranch_execz .LBB0_13
; %bb.12:
	s_add_u32 s0, s16, s6
	s_mov_b32 s6, 0x539782a
	s_addc_u32 s1, s17, s7
	v_mul_hi_u32 v1, v0, s6
	s_load_dwordx2 s[0:1], s[0:1], 0x0
	v_mul_u32_u24_e32 v1, 49, v1
	v_sub_u32_e32 v204, v0, v1
	s_waitcnt lgkmcnt(0)
	v_mul_lo_u32 v8, s1, v198
	v_mad_u64_u32 v[0:1], s[6:7], s20, v204, 0
	v_mul_lo_u32 v9, s0, v199
	v_mad_u64_u32 v[2:3], s[0:1], s0, v198, 0
	v_add_u32_e32 v10, 0x405, v204
	v_add_u32_e32 v12, 0x55c, v204
	v_mad_u64_u32 v[6:7], s[0:1], s21, v204, v[1:2]
	v_add3_u32 v3, v3, v9, v8
	v_lshlrev_b64 v[2:3], 4, v[2:3]
	v_mov_b32_e32 v1, v6
	v_mov_b32_e32 v6, s9
	v_add_co_u32_e64 v7, s[0:1], s8, v2
	v_add_u32_e32 v8, 0x157, v204
	v_addc_co_u32_e64 v6, s[0:1], v6, v3, s[0:1]
	v_lshlrev_b64 v[2:3], 4, v[4:5]
	v_mad_u64_u32 v[4:5], s[0:1], s20, v8, 0
	v_add_co_u32_e64 v58, s[0:1], v7, v2
	v_mov_b32_e32 v2, v5
	v_addc_co_u32_e64 v59, s[0:1], v6, v3, s[0:1]
	v_mad_u64_u32 v[2:3], s[0:1], s21, v8, v[2:3]
	v_add_u32_e32 v8, 0x2ae, v204
	v_mad_u64_u32 v[6:7], s[0:1], s20, v8, 0
	v_lshlrev_b64 v[0:1], 4, v[0:1]
	v_mov_b32_e32 v5, v2
	v_add_co_u32_e64 v0, s[0:1], v58, v0
	v_lshlrev_b64 v[2:3], 4, v[4:5]
	v_mov_b32_e32 v4, v7
	v_addc_co_u32_e64 v1, s[0:1], v59, v1, s[0:1]
	v_mad_u64_u32 v[4:5], s[0:1], s21, v8, v[4:5]
	v_mad_u64_u32 v[8:9], s[0:1], s20, v10, 0
	v_mov_b32_e32 v7, v4
	v_add_co_u32_e64 v2, s[0:1], v58, v2
	v_lshlrev_b64 v[4:5], 4, v[6:7]
	v_mov_b32_e32 v6, v9
	v_addc_co_u32_e64 v3, s[0:1], v59, v3, s[0:1]
	v_mad_u64_u32 v[6:7], s[0:1], s21, v10, v[6:7]
	v_mad_u64_u32 v[10:11], s[0:1], s20, v12, 0
	v_mov_b32_e32 v9, v6
	v_add_co_u32_e64 v4, s[0:1], v58, v4
	v_lshlrev_b64 v[6:7], 4, v[8:9]
	v_mov_b32_e32 v8, v11
	v_addc_co_u32_e64 v5, s[0:1], v59, v5, s[0:1]
	v_mad_u64_u32 v[8:9], s[0:1], s21, v12, v[8:9]
	v_add_u32_e32 v14, 0x6b3, v204
	v_mad_u64_u32 v[12:13], s[0:1], s20, v14, 0
	v_mov_b32_e32 v11, v8
	v_add_co_u32_e64 v6, s[0:1], v58, v6
	v_lshlrev_b64 v[8:9], 4, v[10:11]
	v_mov_b32_e32 v10, v13
	v_addc_co_u32_e64 v7, s[0:1], v59, v7, s[0:1]
	v_mad_u64_u32 v[10:11], s[0:1], s21, v14, v[10:11]
	v_add_u32_e32 v16, 0x80a, v204
	v_mad_u64_u32 v[14:15], s[0:1], s20, v16, 0
	v_mov_b32_e32 v13, v10
	v_add_co_u32_e64 v8, s[0:1], v58, v8
	v_lshlrev_b64 v[10:11], 4, v[12:13]
	v_mov_b32_e32 v12, v15
	v_addc_co_u32_e64 v9, s[0:1], v59, v9, s[0:1]
	v_mad_u64_u32 v[12:13], s[0:1], s21, v16, v[12:13]
	v_add_u32_e32 v249, 49, v204
	v_mad_u64_u32 v[16:17], s[0:1], s20, v249, 0
	v_mov_b32_e32 v15, v12
	v_add_co_u32_e64 v10, s[0:1], v58, v10
	v_lshlrev_b64 v[12:13], 4, v[14:15]
	v_mov_b32_e32 v14, v17
	v_addc_co_u32_e64 v11, s[0:1], v59, v11, s[0:1]
	v_mad_u64_u32 v[14:15], s[0:1], s21, v249, v[14:15]
	v_add_u32_e32 v20, 0x188, v204
	v_mad_u64_u32 v[18:19], s[0:1], s20, v20, 0
	v_mov_b32_e32 v17, v14
	v_add_co_u32_e64 v12, s[0:1], v58, v12
	v_lshlrev_b64 v[14:15], 4, v[16:17]
	v_mov_b32_e32 v16, v19
	v_addc_co_u32_e64 v13, s[0:1], v59, v13, s[0:1]
	v_mad_u64_u32 v[16:17], s[0:1], s21, v20, v[16:17]
	v_add_u32_e32 v22, 0x2df, v204
	v_mad_u64_u32 v[20:21], s[0:1], s20, v22, 0
	v_mov_b32_e32 v19, v16
	v_add_co_u32_e64 v14, s[0:1], v58, v14
	v_lshlrev_b64 v[16:17], 4, v[18:19]
	v_mov_b32_e32 v18, v21
	v_addc_co_u32_e64 v15, s[0:1], v59, v15, s[0:1]
	v_mad_u64_u32 v[18:19], s[0:1], s21, v22, v[18:19]
	v_add_u32_e32 v24, 0x436, v204
	v_mad_u64_u32 v[22:23], s[0:1], s20, v24, 0
	v_mov_b32_e32 v21, v18
	v_add_co_u32_e64 v16, s[0:1], v58, v16
	v_lshlrev_b64 v[18:19], 4, v[20:21]
	v_mov_b32_e32 v20, v23
	v_addc_co_u32_e64 v17, s[0:1], v59, v17, s[0:1]
	v_mad_u64_u32 v[20:21], s[0:1], s21, v24, v[20:21]
	v_add_u32_e32 v26, 0x58d, v204
	v_mad_u64_u32 v[24:25], s[0:1], s20, v26, 0
	v_mov_b32_e32 v23, v20
	v_add_co_u32_e64 v18, s[0:1], v58, v18
	v_lshlrev_b64 v[20:21], 4, v[22:23]
	v_mov_b32_e32 v22, v25
	v_addc_co_u32_e64 v19, s[0:1], v59, v19, s[0:1]
	v_mad_u64_u32 v[22:23], s[0:1], s21, v26, v[22:23]
	v_add_u32_e32 v28, 0x6e4, v204
	v_mad_u64_u32 v[26:27], s[0:1], s20, v28, 0
	v_mov_b32_e32 v25, v22
	v_add_co_u32_e64 v20, s[0:1], v58, v20
	v_lshlrev_b64 v[22:23], 4, v[24:25]
	v_mov_b32_e32 v24, v27
	v_addc_co_u32_e64 v21, s[0:1], v59, v21, s[0:1]
	v_mad_u64_u32 v[24:25], s[0:1], s21, v28, v[24:25]
	v_add_u32_e32 v30, 0x83b, v204
	v_mad_u64_u32 v[28:29], s[0:1], s20, v30, 0
	v_mov_b32_e32 v27, v24
	v_add_co_u32_e64 v22, s[0:1], v58, v22
	v_lshlrev_b64 v[24:25], 4, v[26:27]
	v_mov_b32_e32 v26, v29
	v_addc_co_u32_e64 v23, s[0:1], v59, v23, s[0:1]
	v_mad_u64_u32 v[26:27], s[0:1], s21, v30, v[26:27]
	v_add_u32_e32 v205, 0x62, v204
	v_mad_u64_u32 v[30:31], s[0:1], s20, v205, 0
	v_mov_b32_e32 v29, v26
	v_add_co_u32_e64 v24, s[0:1], v58, v24
	v_lshlrev_b64 v[26:27], 4, v[28:29]
	v_mov_b32_e32 v28, v31
	v_addc_co_u32_e64 v25, s[0:1], v59, v25, s[0:1]
	v_mad_u64_u32 v[28:29], s[0:1], s21, v205, v[28:29]
	v_add_u32_e32 v34, 0x1b9, v204
	v_mad_u64_u32 v[32:33], s[0:1], s20, v34, 0
	v_mov_b32_e32 v31, v28
	v_add_co_u32_e64 v26, s[0:1], v58, v26
	v_lshlrev_b64 v[28:29], 4, v[30:31]
	v_mov_b32_e32 v30, v33
	v_addc_co_u32_e64 v27, s[0:1], v59, v27, s[0:1]
	v_mad_u64_u32 v[30:31], s[0:1], s21, v34, v[30:31]
	v_add_u32_e32 v36, 0x310, v204
	v_mad_u64_u32 v[34:35], s[0:1], s20, v36, 0
	v_mov_b32_e32 v33, v30
	v_add_co_u32_e64 v28, s[0:1], v58, v28
	v_lshlrev_b64 v[30:31], 4, v[32:33]
	v_mov_b32_e32 v32, v35
	v_addc_co_u32_e64 v29, s[0:1], v59, v29, s[0:1]
	v_mad_u64_u32 v[32:33], s[0:1], s21, v36, v[32:33]
	v_add_u32_e32 v38, 0x467, v204
	v_mad_u64_u32 v[36:37], s[0:1], s20, v38, 0
	v_mov_b32_e32 v35, v32
	v_add_co_u32_e64 v30, s[0:1], v58, v30
	v_lshlrev_b64 v[32:33], 4, v[34:35]
	v_mov_b32_e32 v34, v37
	v_addc_co_u32_e64 v31, s[0:1], v59, v31, s[0:1]
	v_mad_u64_u32 v[34:35], s[0:1], s21, v38, v[34:35]
	v_add_u32_e32 v40, 0x5be, v204
	v_mad_u64_u32 v[38:39], s[0:1], s20, v40, 0
	v_mov_b32_e32 v37, v34
	v_add_co_u32_e64 v32, s[0:1], v58, v32
	v_lshlrev_b64 v[34:35], 4, v[36:37]
	v_mov_b32_e32 v36, v39
	v_addc_co_u32_e64 v33, s[0:1], v59, v33, s[0:1]
	v_mad_u64_u32 v[36:37], s[0:1], s21, v40, v[36:37]
	v_add_u32_e32 v42, 0x715, v204
	v_mad_u64_u32 v[40:41], s[0:1], s20, v42, 0
	v_mov_b32_e32 v39, v36
	v_add_co_u32_e64 v34, s[0:1], v58, v34
	v_lshlrev_b64 v[36:37], 4, v[38:39]
	v_mov_b32_e32 v38, v41
	v_addc_co_u32_e64 v35, s[0:1], v59, v35, s[0:1]
	v_mad_u64_u32 v[38:39], s[0:1], s21, v42, v[38:39]
	v_add_u32_e32 v44, 0x86c, v204
	v_mad_u64_u32 v[42:43], s[0:1], s20, v44, 0
	v_mov_b32_e32 v41, v38
	v_add_co_u32_e64 v36, s[0:1], v58, v36
	v_lshlrev_b64 v[38:39], 4, v[40:41]
	v_mov_b32_e32 v40, v43
	v_addc_co_u32_e64 v37, s[0:1], v59, v37, s[0:1]
	v_mad_u64_u32 v[40:41], s[0:1], s21, v44, v[40:41]
	v_add_u32_e32 v207, 0x93, v204
	v_mad_u64_u32 v[44:45], s[0:1], s20, v207, 0
	v_mov_b32_e32 v43, v40
	v_add_co_u32_e64 v38, s[0:1], v58, v38
	v_lshlrev_b64 v[40:41], 4, v[42:43]
	v_mov_b32_e32 v42, v45
	v_addc_co_u32_e64 v39, s[0:1], v59, v39, s[0:1]
	v_mad_u64_u32 v[42:43], s[0:1], s21, v207, v[42:43]
	v_add_u32_e32 v48, 0x1ea, v204
	v_mad_u64_u32 v[46:47], s[0:1], s20, v48, 0
	v_mov_b32_e32 v45, v42
	v_add_co_u32_e64 v40, s[0:1], v58, v40
	v_lshlrev_b64 v[42:43], 4, v[44:45]
	v_mov_b32_e32 v44, v47
	v_addc_co_u32_e64 v41, s[0:1], v59, v41, s[0:1]
	v_mad_u64_u32 v[44:45], s[0:1], s21, v48, v[44:45]
	v_add_u32_e32 v50, 0x341, v204
	v_mad_u64_u32 v[48:49], s[0:1], s20, v50, 0
	v_mov_b32_e32 v47, v44
	v_add_co_u32_e64 v42, s[0:1], v58, v42
	v_lshlrev_b64 v[44:45], 4, v[46:47]
	v_mov_b32_e32 v46, v49
	v_addc_co_u32_e64 v43, s[0:1], v59, v43, s[0:1]
	v_mad_u64_u32 v[46:47], s[0:1], s21, v50, v[46:47]
	v_add_u32_e32 v52, 0x498, v204
	v_mad_u64_u32 v[50:51], s[0:1], s20, v52, 0
	v_mov_b32_e32 v49, v46
	v_add_co_u32_e64 v44, s[0:1], v58, v44
	v_lshlrev_b64 v[46:47], 4, v[48:49]
	v_mov_b32_e32 v48, v51
	v_addc_co_u32_e64 v45, s[0:1], v59, v45, s[0:1]
	v_mad_u64_u32 v[48:49], s[0:1], s21, v52, v[48:49]
	v_add_u32_e32 v54, 0x5ef, v204
	v_mad_u64_u32 v[52:53], s[0:1], s20, v54, 0
	v_mov_b32_e32 v51, v48
	v_add_co_u32_e64 v46, s[0:1], v58, v46
	v_lshlrev_b64 v[48:49], 4, v[50:51]
	v_mov_b32_e32 v50, v53
	v_addc_co_u32_e64 v47, s[0:1], v59, v47, s[0:1]
	v_mad_u64_u32 v[50:51], s[0:1], s21, v54, v[50:51]
	v_add_u32_e32 v56, 0x746, v204
	v_mad_u64_u32 v[54:55], s[0:1], s20, v56, 0
	v_mov_b32_e32 v53, v50
	v_add_co_u32_e64 v48, s[0:1], v58, v48
	v_lshlrev_b64 v[50:51], 4, v[52:53]
	v_mov_b32_e32 v52, v55
	v_addc_co_u32_e64 v49, s[0:1], v59, v49, s[0:1]
	v_mad_u64_u32 v[52:53], s[0:1], s21, v56, v[52:53]
	v_add_u32_e32 v60, 0x89d, v204
	v_mad_u64_u32 v[56:57], s[0:1], s20, v60, 0
	v_mov_b32_e32 v55, v52
	v_add_co_u32_e64 v50, s[0:1], v58, v50
	v_lshlrev_b64 v[52:53], 4, v[54:55]
	v_mov_b32_e32 v54, v57
	v_addc_co_u32_e64 v51, s[0:1], v59, v51, s[0:1]
	v_mad_u64_u32 v[54:55], s[0:1], s21, v60, v[54:55]
	v_add_u32_e32 v208, 0xc4, v204
	v_mad_u64_u32 v[60:61], s[0:1], s20, v208, 0
	v_mov_b32_e32 v57, v54
	v_add_co_u32_e64 v52, s[0:1], v58, v52
	v_lshlrev_b64 v[54:55], 4, v[56:57]
	v_mov_b32_e32 v56, v61
	v_addc_co_u32_e64 v53, s[0:1], v59, v53, s[0:1]
	v_mad_u64_u32 v[56:57], s[0:1], s21, v208, v[56:57]
	v_add_u32_e32 v64, 0x21b, v204
	v_mad_u64_u32 v[62:63], s[0:1], s20, v64, 0
	v_mov_b32_e32 v61, v56
	v_add_co_u32_e64 v54, s[0:1], v58, v54
	v_lshlrev_b64 v[56:57], 4, v[60:61]
	v_mov_b32_e32 v60, v63
	v_addc_co_u32_e64 v55, s[0:1], v59, v55, s[0:1]
	v_mad_u64_u32 v[60:61], s[0:1], s21, v64, v[60:61]
	v_add_u32_e32 v66, 0x372, v204
	v_mad_u64_u32 v[64:65], s[0:1], s20, v66, 0
	v_mov_b32_e32 v63, v60
	v_add_co_u32_e64 v56, s[0:1], v58, v56
	v_lshlrev_b64 v[60:61], 4, v[62:63]
	v_mov_b32_e32 v62, v65
	v_addc_co_u32_e64 v57, s[0:1], v59, v57, s[0:1]
	v_mad_u64_u32 v[62:63], s[0:1], s21, v66, v[62:63]
	v_add_u32_e32 v68, 0x4c9, v204
	v_mad_u64_u32 v[66:67], s[0:1], s20, v68, 0
	v_mov_b32_e32 v65, v62
	v_add_co_u32_e64 v60, s[0:1], v58, v60
	v_lshlrev_b64 v[62:63], 4, v[64:65]
	v_mov_b32_e32 v64, v67
	v_addc_co_u32_e64 v61, s[0:1], v59, v61, s[0:1]
	v_mad_u64_u32 v[64:65], s[0:1], s21, v68, v[64:65]
	v_add_u32_e32 v70, 0x620, v204
	v_mad_u64_u32 v[68:69], s[0:1], s20, v70, 0
	v_mov_b32_e32 v67, v64
	v_add_co_u32_e64 v62, s[0:1], v58, v62
	v_lshlrev_b64 v[64:65], 4, v[66:67]
	v_mov_b32_e32 v66, v69
	v_addc_co_u32_e64 v63, s[0:1], v59, v63, s[0:1]
	v_mad_u64_u32 v[66:67], s[0:1], s21, v70, v[66:67]
	v_add_u32_e32 v72, 0x777, v204
	v_mad_u64_u32 v[70:71], s[0:1], s20, v72, 0
	v_mov_b32_e32 v69, v66
	v_add_co_u32_e64 v64, s[0:1], v58, v64
	v_lshlrev_b64 v[66:67], 4, v[68:69]
	v_mov_b32_e32 v68, v71
	v_addc_co_u32_e64 v65, s[0:1], v59, v65, s[0:1]
	v_mad_u64_u32 v[68:69], s[0:1], s21, v72, v[68:69]
	v_add_u32_e32 v74, 0x8ce, v204
	v_mad_u64_u32 v[72:73], s[0:1], s20, v74, 0
	v_mov_b32_e32 v71, v68
	v_add_co_u32_e64 v66, s[0:1], v58, v66
	v_lshlrev_b64 v[68:69], 4, v[70:71]
	v_mov_b32_e32 v70, v73
	v_add_u32_e32 v209, 0xf5, v204
	v_addc_co_u32_e64 v67, s[0:1], v59, v67, s[0:1]
	v_mad_u64_u32 v[70:71], s[0:1], s21, v74, v[70:71]
	v_mad_u64_u32 v[74:75], s[0:1], s20, v209, 0
	v_add_co_u32_e64 v80, s[0:1], v58, v68
	v_mov_b32_e32 v73, v70
	v_mov_b32_e32 v70, v75
	v_addc_co_u32_e64 v81, s[0:1], v59, v69, s[0:1]
	v_lshlrev_b64 v[68:69], 4, v[72:73]
	v_mad_u64_u32 v[70:71], s[0:1], s21, v209, v[70:71]
	v_add_u32_e32 v73, 0x24c, v204
	v_mad_u64_u32 v[71:72], s[0:1], s20, v73, 0
	v_add_co_u32_e64 v82, s[0:1], v58, v68
	v_mov_b32_e32 v75, v70
	v_mov_b32_e32 v70, v72
	v_addc_co_u32_e64 v83, s[0:1], v59, v69, s[0:1]
	v_lshlrev_b64 v[68:69], 4, v[74:75]
	v_mad_u64_u32 v[72:73], s[0:1], s21, v73, v[70:71]
	v_add_u32_e32 v75, 0x3a3, v204
	v_mad_u64_u32 v[73:74], s[0:1], s20, v75, 0
	v_add_co_u32_e64 v200, s[0:1], v58, v68
	v_mov_b32_e32 v70, v74
	v_addc_co_u32_e64 v201, s[0:1], v59, v69, s[0:1]
	v_lshlrev_b64 v[68:69], 4, v[71:72]
	v_mad_u64_u32 v[70:71], s[0:1], s21, v75, v[70:71]
	v_add_u32_e32 v75, 0x4fa, v204
	v_mad_u64_u32 v[71:72], s[0:1], s20, v75, 0
	v_add_co_u32_e64 v202, s[0:1], v58, v68
	v_mov_b32_e32 v74, v70
	v_mov_b32_e32 v70, v72
	v_addc_co_u32_e64 v203, s[0:1], v59, v69, s[0:1]
	v_lshlrev_b64 v[68:69], 4, v[73:74]
	v_mad_u64_u32 v[72:73], s[0:1], s21, v75, v[70:71]
	v_add_u32_e32 v75, 0x651, v204
	v_mad_u64_u32 v[73:74], s[0:1], s20, v75, 0
	v_add_co_u32_e64 v210, s[0:1], v58, v68
	;; [unrolled: 15-line block ×6, first 2 shown]
	v_mov_b32_e32 v70, v74
	v_addc_co_u32_e64 v228, s[0:1], v59, v69, s[0:1]
	v_lshlrev_b64 v[68:69], 4, v[71:72]
	v_mad_u64_u32 v[70:71], s[0:1], s21, v75, v[70:71]
	v_add_u32_e32 v75, 0x930, v204
	v_mad_u64_u32 v[71:72], s[0:1], s20, v75, 0
	v_add_co_u32_e64 v229, s[0:1], v58, v68
	global_load_dwordx4 v[168:171], v[0:1], off
	global_load_dwordx4 v[172:175], v[2:3], off
	v_mov_b32_e32 v2, v72
	v_addc_co_u32_e64 v230, s[0:1], v59, v69, s[0:1]
	v_mad_u64_u32 v[2:3], s[0:1], s21, v75, v[2:3]
	v_mov_b32_e32 v74, v70
	v_lshlrev_b64 v[0:1], 4, v[73:74]
	v_mov_b32_e32 v72, v2
	v_add_co_u32_e64 v231, s[0:1], v58, v0
	v_addc_co_u32_e64 v232, s[0:1], v59, v1, s[0:1]
	v_lshlrev_b64 v[0:1], 4, v[71:72]
	v_add_co_u32_e64 v233, s[0:1], v58, v0
	v_addc_co_u32_e64 v234, s[0:1], v59, v1, s[0:1]
	global_load_dwordx4 v[184:187], v[4:5], off
	global_load_dwordx4 v[176:179], v[6:7], off
	;; [unrolled: 1-line block ×3, first 2 shown]
                                        ; kill: killed $vgpr4 killed $vgpr5
                                        ; kill: killed $vgpr6 killed $vgpr7
                                        ; kill: killed $vgpr8 killed $vgpr9
	global_load_dwordx4 v[188:191], v[10:11], off
	global_load_dwordx4 v[192:195], v[12:13], off
                                        ; kill: killed $vgpr10 killed $vgpr11
                                        ; kill: killed $vgpr12 killed $vgpr13
	global_load_dwordx4 v[140:143], v[14:15], off
	global_load_dwordx4 v[160:163], v[16:17], off
	;; [unrolled: 1-line block ×21, first 2 shown]
	s_nop 0
	global_load_dwordx4 v[56:59], v[56:57], off
	s_nop 0
	global_load_dwordx4 v[76:79], v[60:61], off
	global_load_dwordx4 v[68:71], v[62:63], off
	s_nop 0
	global_load_dwordx4 v[60:63], v[64:65], off
	s_nop 0
	global_load_dwordx4 v[64:67], v[66:67], off
	s_nop 0
	global_load_dwordx4 v[72:75], v[80:81], off
	s_nop 0
	global_load_dwordx4 v[80:83], v[82:83], off
	s_nop 0
	global_load_dwordx4 v[28:31], v[200:201], off
	global_load_dwordx4 v[48:51], v[202:203], off
	;; [unrolled: 1-line block ×14, first 2 shown]
.LBB0_13:
	s_or_b64 exec, exec, s[4:5]
	s_waitcnt vmcnt(42)
	v_add_f64 v[200:201], v[192:193], v[172:173]
	v_add_f64 v[202:203], v[194:195], v[174:175]
	v_add_f64 v[172:173], v[172:173], -v[192:193]
	v_add_f64 v[174:175], v[174:175], -v[194:195]
	v_add_f64 v[192:193], v[188:189], v[184:185]
	v_add_f64 v[194:195], v[190:191], v[186:187]
	v_add_f64 v[184:185], v[184:185], -v[188:189]
	v_add_f64 v[186:187], v[186:187], -v[190:191]
	;; [unrolled: 4-line block ×4, first 2 shown]
	v_add_f64 v[200:201], v[200:201], -v[188:189]
	v_add_f64 v[202:203], v[202:203], -v[190:191]
	;; [unrolled: 1-line block ×4, first 2 shown]
	v_add_f64 v[215:216], v[176:177], v[184:185]
	v_add_f64 v[217:218], v[178:179], v[186:187]
	v_add_f64 v[219:220], v[176:177], -v[184:185]
	v_add_f64 v[221:222], v[178:179], -v[186:187]
	v_add_f64 v[188:189], v[188:189], v[180:181]
	v_add_f64 v[182:183], v[190:191], v[182:183]
	v_add_f64 v[184:185], v[184:185], -v[172:173]
	s_mov_b32 s4, 0x37e14327
	s_mov_b32 s16, 0x36b3c0b5
	;; [unrolled: 1-line block ×8, first 2 shown]
	v_add_f64 v[176:177], v[172:173], -v[176:177]
	v_add_f64 v[178:179], v[174:175], -v[178:179]
	;; [unrolled: 1-line block ×3, first 2 shown]
	v_add_f64 v[172:173], v[215:216], v[172:173]
	v_add_f64 v[174:175], v[217:218], v[174:175]
	;; [unrolled: 1-line block ×4, first 2 shown]
	v_mul_f64 v[170:171], v[200:201], s[4:5]
	v_mul_f64 v[190:191], v[202:203], s[4:5]
	;; [unrolled: 1-line block ×7, first 2 shown]
	s_mov_b32 s20, 0xaaaaaaaa
	s_mov_b32 s6, 0x5476071b
	;; [unrolled: 1-line block ×10, first 2 shown]
	v_mul_f64 v[221:222], v[186:187], s[0:1]
	v_fma_f64 v[188:189], v[188:189], s[20:21], v[180:181]
	v_fma_f64 v[182:183], v[182:183], s[20:21], v[168:169]
	;; [unrolled: 1-line block ×4, first 2 shown]
	v_fma_f64 v[200:201], v[210:211], s[6:7], -v[200:201]
	v_fma_f64 v[202:203], v[212:213], s[6:7], -v[202:203]
	;; [unrolled: 1-line block ×4, first 2 shown]
	v_fma_f64 v[210:211], v[176:177], s[24:25], v[215:216]
	v_fma_f64 v[184:185], v[184:185], s[0:1], -v[215:216]
	v_fma_f64 v[186:187], v[186:187], s[0:1], -v[217:218]
	;; [unrolled: 1-line block ×3, first 2 shown]
	s_mov_b32 s14, 0x37c3f68c
	s_mov_b32 s15, 0x3fdc38aa
	v_fma_f64 v[212:213], v[178:179], s[24:25], v[217:218]
	v_fma_f64 v[178:179], v[178:179], s[22:23], -v[221:222]
	v_add_f64 v[200:201], v[200:201], v[188:189]
	v_add_f64 v[202:203], v[202:203], v[182:183]
	;; [unrolled: 1-line block ×3, first 2 shown]
	v_fma_f64 v[219:220], v[172:173], s[14:15], v[176:177]
	v_fma_f64 v[176:177], v[174:175], s[14:15], v[186:187]
	;; [unrolled: 1-line block ×3, first 2 shown]
	v_add_f64 v[192:193], v[192:193], v[188:189]
	v_add_f64 v[215:216], v[170:171], v[188:189]
	v_fma_f64 v[212:213], v[174:175], s[14:15], v[212:213]
	v_fma_f64 v[178:179], v[174:175], s[14:15], v[178:179]
	;; [unrolled: 1-line block ×3, first 2 shown]
	v_add_f64 v[172:173], v[217:218], -v[219:220]
	v_add_f64 v[186:187], v[200:201], -v[176:177]
	v_add_f64 v[174:175], v[190:191], v[202:203]
	v_add_f64 v[188:189], v[176:177], v[200:201]
	v_add_f64 v[176:177], v[202:203], -v[190:191]
	s_waitcnt vmcnt(35)
	v_add_f64 v[200:201], v[164:165], v[160:161]
	v_add_f64 v[202:203], v[166:167], v[162:163]
	v_add_f64 v[160:161], v[160:161], -v[164:165]
	v_add_f64 v[162:163], v[162:163], -v[166:167]
	v_add_f64 v[164:165], v[156:157], v[152:153]
	v_add_f64 v[166:167], v[158:159], v[154:155]
	v_add_f64 v[152:153], v[152:153], -v[156:157]
	v_add_f64 v[154:155], v[154:155], -v[158:159]
	;; [unrolled: 4-line block ×3, first 2 shown]
	v_add_f64 v[148:149], v[164:165], v[200:201]
	v_add_f64 v[150:151], v[166:167], v[202:203]
	;; [unrolled: 1-line block ×3, first 2 shown]
	v_add_f64 v[190:191], v[215:216], -v[178:179]
	v_add_f64 v[178:179], v[219:220], v[217:218]
	v_add_f64 v[215:216], v[164:165], -v[200:201]
	v_add_f64 v[217:218], v[166:167], -v[202:203]
	;; [unrolled: 1-line block ×6, first 2 shown]
	v_add_f64 v[219:220], v[144:145], v[152:153]
	v_add_f64 v[221:222], v[146:147], v[154:155]
	v_add_f64 v[223:224], v[144:145], -v[152:153]
	v_add_f64 v[225:226], v[146:147], -v[154:155]
	v_add_f64 v[148:149], v[156:157], v[148:149]
	v_add_f64 v[150:151], v[158:159], v[150:151]
	v_add_f64 v[152:153], v[152:153], -v[160:161]
	v_add_f64 v[156:157], v[154:155], -v[162:163]
	;; [unrolled: 1-line block ×4, first 2 shown]
	v_add_f64 v[158:159], v[219:220], v[160:161]
	v_add_f64 v[160:161], v[221:222], v[162:163]
	;; [unrolled: 1-line block ×4, first 2 shown]
	v_mul_f64 v[142:143], v[200:201], s[4:5]
	v_mul_f64 v[162:163], v[202:203], s[4:5]
	v_mul_f64 v[200:201], v[164:165], s[16:17]
	v_mul_f64 v[202:203], v[166:167], s[16:17]
	v_mul_f64 v[219:220], v[223:224], s[18:19]
	v_mul_f64 v[221:222], v[225:226], s[18:19]
	v_mul_f64 v[223:224], v[152:153], s[0:1]
	v_mul_f64 v[225:226], v[156:157], s[0:1]
	v_add_f64 v[194:195], v[194:195], v[182:183]
	v_fma_f64 v[150:151], v[150:151], s[20:21], v[140:141]
	v_fma_f64 v[164:165], v[164:165], s[16:17], v[142:143]
	v_fma_f64 v[166:167], v[166:167], s[16:17], v[162:163]
	v_fma_f64 v[200:201], v[215:216], s[6:7], -v[200:201]
	v_fma_f64 v[202:203], v[217:218], s[6:7], -v[202:203]
	;; [unrolled: 1-line block ×4, first 2 shown]
	v_fma_f64 v[215:216], v[144:145], s[24:25], v[219:220]
	v_fma_f64 v[217:218], v[146:147], s[24:25], v[221:222]
	v_fma_f64 v[156:157], v[156:157], s[0:1], -v[221:222]
	v_fma_f64 v[144:145], v[144:145], s[22:23], -v[223:224]
	;; [unrolled: 1-line block ×3, first 2 shown]
	v_add_f64 v[182:183], v[212:213], v[192:193]
	v_add_f64 v[170:171], v[194:195], -v[210:211]
	v_fma_f64 v[148:149], v[148:149], s[20:21], v[154:155]
	v_fma_f64 v[152:153], v[152:153], s[0:1], -v[219:220]
	v_add_f64 v[221:222], v[166:167], v[150:151]
	v_add_f64 v[166:167], v[202:203], v[150:151]
	;; [unrolled: 1-line block ×3, first 2 shown]
	v_fma_f64 v[217:218], v[160:161], s[14:15], v[217:218]
	v_fma_f64 v[223:224], v[160:161], s[14:15], v[146:147]
	;; [unrolled: 1-line block ×4, first 2 shown]
	v_add_f64 v[160:161], v[192:193], -v[212:213]
	v_add_f64 v[144:145], v[210:211], v[194:195]
	s_waitcnt vmcnt(28)
	v_add_f64 v[192:193], v[136:137], v[132:133]
	v_add_f64 v[194:195], v[138:139], v[134:135]
	v_add_f64 v[132:133], v[132:133], -v[136:137]
	v_add_f64 v[134:135], v[134:135], -v[138:139]
	v_add_f64 v[136:137], v[128:129], v[124:125]
	v_add_f64 v[138:139], v[130:131], v[126:127]
	;; [unrolled: 1-line block ×5, first 2 shown]
	v_fma_f64 v[152:153], v[158:159], s[14:15], v[152:153]
	v_add_f64 v[124:125], v[124:125], -v[128:129]
	v_add_f64 v[126:127], v[126:127], -v[130:131]
	v_add_f64 v[128:129], v[120:121], v[116:117]
	v_add_f64 v[130:131], v[122:123], v[118:119]
	v_add_f64 v[116:117], v[120:121], -v[116:117]
	v_add_f64 v[118:119], v[122:123], -v[118:119]
	v_add_f64 v[120:121], v[136:137], v[192:193]
	v_add_f64 v[122:123], v[138:139], v[194:195]
	v_fma_f64 v[215:216], v[158:159], s[14:15], v[215:216]
	v_add_f64 v[158:159], v[223:224], v[200:201]
	v_add_f64 v[146:147], v[202:203], -v[225:226]
	v_add_f64 v[162:163], v[164:165], -v[150:151]
	v_add_f64 v[148:149], v[152:153], v[166:167]
	v_add_f64 v[164:165], v[150:151], v[164:165]
	v_add_f64 v[150:151], v[166:167], -v[152:153]
	v_add_f64 v[166:167], v[200:201], -v[223:224]
	v_add_f64 v[152:153], v[225:226], v[202:203]
	v_add_f64 v[200:201], v[136:137], -v[192:193]
	v_add_f64 v[202:203], v[138:139], -v[194:195]
	;; [unrolled: 1-line block ×6, first 2 shown]
	v_add_f64 v[210:211], v[116:117], v[124:125]
	v_add_f64 v[212:213], v[118:119], v[126:127]
	v_add_f64 v[223:224], v[116:117], -v[124:125]
	v_add_f64 v[225:226], v[118:119], -v[126:127]
	v_add_f64 v[120:121], v[128:129], v[120:121]
	v_add_f64 v[122:123], v[130:131], v[122:123]
	v_add_f64 v[124:125], v[124:125], -v[132:133]
	v_add_f64 v[128:129], v[126:127], -v[134:135]
	;; [unrolled: 1-line block ×4, first 2 shown]
	v_add_f64 v[130:131], v[210:211], v[132:133]
	v_add_f64 v[132:133], v[212:213], v[134:135]
	;; [unrolled: 1-line block ×4, first 2 shown]
	v_mul_f64 v[114:115], v[192:193], s[4:5]
	v_mul_f64 v[134:135], v[194:195], s[4:5]
	;; [unrolled: 1-line block ×8, first 2 shown]
	v_fma_f64 v[120:121], v[120:121], s[20:21], v[126:127]
	v_fma_f64 v[122:123], v[122:123], s[20:21], v[112:113]
	;; [unrolled: 1-line block ×4, first 2 shown]
	v_fma_f64 v[192:193], v[200:201], s[6:7], -v[192:193]
	v_fma_f64 v[194:195], v[202:203], s[6:7], -v[194:195]
	;; [unrolled: 1-line block ×4, first 2 shown]
	v_fma_f64 v[200:201], v[116:117], s[24:25], v[210:211]
	v_fma_f64 v[202:203], v[118:119], s[24:25], v[212:213]
	v_fma_f64 v[124:125], v[124:125], s[0:1], -v[210:211]
	v_fma_f64 v[128:129], v[128:129], s[0:1], -v[212:213]
	;; [unrolled: 1-line block ×4, first 2 shown]
	v_add_f64 v[210:211], v[136:137], v[120:121]
	v_add_f64 v[212:213], v[138:139], v[122:123]
	;; [unrolled: 1-line block ×6, first 2 shown]
	v_fma_f64 v[225:226], v[130:131], s[14:15], v[116:117]
	v_fma_f64 v[223:224], v[132:133], s[14:15], v[118:119]
	;; [unrolled: 1-line block ×5, first 2 shown]
	v_add_f64 v[156:157], v[217:218], v[219:220]
	v_add_f64 v[142:143], v[221:222], -v[215:216]
	v_fma_f64 v[202:203], v[132:133], s[14:15], v[202:203]
	v_add_f64 v[118:119], v[194:195], -v[225:226]
	v_add_f64 v[130:131], v[223:224], v[192:193]
	v_add_f64 v[134:135], v[136:137], -v[122:123]
	v_add_f64 v[120:121], v[124:125], v[138:139]
	v_add_f64 v[136:137], v[122:123], v[136:137]
	v_add_f64 v[122:123], v[138:139], -v[124:125]
	v_add_f64 v[138:139], v[192:193], -v[223:224]
	v_add_f64 v[124:125], v[225:226], v[194:195]
	s_waitcnt vmcnt(21)
	v_add_f64 v[192:193], v[108:109], v[104:105]
	v_add_f64 v[194:195], v[110:111], v[106:107]
	v_add_f64 v[104:105], v[104:105], -v[108:109]
	v_add_f64 v[106:107], v[106:107], -v[110:111]
	v_add_f64 v[108:109], v[100:101], v[96:97]
	v_add_f64 v[110:111], v[102:103], v[98:99]
	v_add_f64 v[96:97], v[96:97], -v[100:101]
	v_add_f64 v[98:99], v[98:99], -v[102:103]
	v_add_f64 v[100:101], v[92:93], v[88:89]
	v_add_f64 v[102:103], v[94:95], v[90:91]
	v_add_f64 v[88:89], v[92:93], -v[88:89]
	v_add_f64 v[90:91], v[94:95], -v[90:91]
	v_add_f64 v[92:93], v[108:109], v[192:193]
	v_add_f64 v[94:95], v[110:111], v[194:195]
	v_add_f64 v[132:133], v[219:220], -v[217:218]
	v_add_f64 v[116:117], v[215:216], v[221:222]
	v_add_f64 v[215:216], v[108:109], -v[192:193]
	v_add_f64 v[217:218], v[110:111], -v[194:195]
	;; [unrolled: 1-line block ×6, first 2 shown]
	v_add_f64 v[219:220], v[88:89], v[96:97]
	v_add_f64 v[221:222], v[90:91], v[98:99]
	v_add_f64 v[223:224], v[88:89], -v[96:97]
	v_add_f64 v[225:226], v[90:91], -v[98:99]
	v_add_f64 v[92:93], v[100:101], v[92:93]
	v_add_f64 v[94:95], v[102:103], v[94:95]
	v_add_f64 v[96:97], v[96:97], -v[104:105]
	v_add_f64 v[88:89], v[104:105], -v[88:89]
	;; [unrolled: 1-line block ×4, first 2 shown]
	v_add_f64 v[100:101], v[219:220], v[104:105]
	v_add_f64 v[102:103], v[221:222], v[106:107]
	;; [unrolled: 1-line block ×4, first 2 shown]
	v_mul_f64 v[86:87], v[192:193], s[4:5]
	v_mul_f64 v[106:107], v[194:195], s[4:5]
	;; [unrolled: 1-line block ×8, first 2 shown]
	v_fma_f64 v[92:93], v[92:93], s[20:21], v[104:105]
	v_fma_f64 v[94:95], v[94:95], s[20:21], v[84:85]
	;; [unrolled: 1-line block ×4, first 2 shown]
	v_fma_f64 v[192:193], v[215:216], s[6:7], -v[192:193]
	v_fma_f64 v[194:195], v[217:218], s[6:7], -v[194:195]
	;; [unrolled: 1-line block ×4, first 2 shown]
	v_fma_f64 v[215:216], v[88:89], s[24:25], v[219:220]
	v_fma_f64 v[96:97], v[96:97], s[0:1], -v[219:220]
	v_fma_f64 v[98:99], v[98:99], s[0:1], -v[221:222]
	v_fma_f64 v[88:89], v[88:89], s[22:23], -v[223:224]
	v_fma_f64 v[217:218], v[90:91], s[24:25], v[221:222]
	v_fma_f64 v[90:91], v[90:91], s[22:23], -v[225:226]
	v_add_f64 v[110:111], v[110:111], v[94:95]
	v_add_f64 v[192:193], v[192:193], v[92:93]
	;; [unrolled: 1-line block ×4, first 2 shown]
	v_fma_f64 v[94:95], v[102:103], s[14:15], v[98:99]
	v_fma_f64 v[223:224], v[100:101], s[14:15], v[88:89]
	;; [unrolled: 1-line block ×3, first 2 shown]
	v_add_f64 v[128:129], v[202:203], v[210:211]
	v_add_f64 v[114:115], v[212:213], -v[200:201]
	v_add_f64 v[108:109], v[108:109], v[92:93]
	v_add_f64 v[219:220], v[86:87], v[92:93]
	v_fma_f64 v[221:222], v[102:103], s[14:15], v[90:91]
	v_add_f64 v[98:99], v[210:211], -v[202:203]
	v_add_f64 v[88:89], v[200:201], v[212:213]
	v_add_f64 v[90:91], v[106:107], -v[223:224]
	v_add_f64 v[200:201], v[192:193], -v[94:95]
	v_add_f64 v[92:93], v[96:97], v[194:195]
	v_add_f64 v[192:193], v[94:95], v[192:193]
	v_add_f64 v[94:95], v[194:195], -v[96:97]
	v_add_f64 v[96:97], v[223:224], v[106:107]
	s_waitcnt vmcnt(14)
	v_add_f64 v[106:107], v[80:81], v[76:77]
	v_add_f64 v[202:203], v[82:83], v[78:79]
	v_add_f64 v[76:77], v[76:77], -v[80:81]
	v_add_f64 v[78:79], v[78:79], -v[82:83]
	v_add_f64 v[80:81], v[72:73], v[68:69]
	v_add_f64 v[82:83], v[74:75], v[70:71]
	v_add_f64 v[68:69], v[68:69], -v[72:73]
	v_add_f64 v[70:71], v[70:71], -v[74:75]
	;; [unrolled: 4-line block ×3, first 2 shown]
	v_add_f64 v[64:65], v[80:81], v[106:107]
	v_add_f64 v[66:67], v[82:83], v[202:203]
	v_fma_f64 v[217:218], v[102:103], s[14:15], v[217:218]
	v_add_f64 v[102:103], v[221:222], v[219:220]
	v_add_f64 v[194:195], v[219:220], -v[221:222]
	v_add_f64 v[210:211], v[80:81], -v[106:107]
	;; [unrolled: 1-line block ×7, first 2 shown]
	v_add_f64 v[219:220], v[60:61], v[68:69]
	v_add_f64 v[221:222], v[62:63], v[70:71]
	v_add_f64 v[223:224], v[60:61], -v[68:69]
	v_add_f64 v[225:226], v[62:63], -v[70:71]
	v_add_f64 v[64:65], v[72:73], v[64:65]
	v_add_f64 v[66:67], v[74:75], v[66:67]
	v_add_f64 v[68:69], v[68:69], -v[76:77]
	v_add_f64 v[60:61], v[76:77], -v[60:61]
	;; [unrolled: 1-line block ×4, first 2 shown]
	v_add_f64 v[74:75], v[219:220], v[76:77]
	v_add_f64 v[76:77], v[221:222], v[78:79]
	;; [unrolled: 1-line block ×4, first 2 shown]
	v_mul_f64 v[58:59], v[106:107], s[4:5]
	v_mul_f64 v[78:79], v[202:203], s[4:5]
	;; [unrolled: 1-line block ×8, first 2 shown]
	v_fma_f64 v[64:65], v[64:65], s[20:21], v[56:57]
	v_fma_f64 v[66:67], v[66:67], s[20:21], v[62:63]
	;; [unrolled: 1-line block ×4, first 2 shown]
	v_fma_f64 v[106:107], v[210:211], s[6:7], -v[106:107]
	v_fma_f64 v[202:203], v[212:213], s[6:7], -v[202:203]
	;; [unrolled: 1-line block ×4, first 2 shown]
	v_fma_f64 v[210:211], v[60:61], s[24:25], v[219:220]
	v_fma_f64 v[68:69], v[68:69], s[0:1], -v[219:220]
	v_fma_f64 v[70:71], v[70:71], s[0:1], -v[221:222]
	;; [unrolled: 1-line block ×3, first 2 shown]
	v_fma_f64 v[215:216], v[100:101], s[14:15], v[215:216]
	v_fma_f64 v[212:213], v[72:73], s[24:25], v[221:222]
	v_add_f64 v[80:81], v[80:81], v[64:65]
	v_add_f64 v[106:107], v[106:107], v[64:65]
	;; [unrolled: 1-line block ×5, first 2 shown]
	v_fma_f64 v[60:61], v[74:75], s[14:15], v[60:61]
	v_fma_f64 v[70:71], v[76:77], s[14:15], v[70:71]
	;; [unrolled: 1-line block ×3, first 2 shown]
	v_add_f64 v[100:101], v[217:218], v[108:109]
	v_add_f64 v[86:87], v[110:111], -v[215:216]
	v_fma_f64 v[72:73], v[72:73], s[22:23], -v[225:226]
	v_add_f64 v[82:83], v[82:83], v[66:67]
	v_fma_f64 v[66:67], v[76:77], s[14:15], v[212:213]
	v_fma_f64 v[78:79], v[74:75], s[14:15], v[210:211]
	v_add_f64 v[74:75], v[108:109], -v[217:218]
	v_add_f64 v[108:109], v[215:216], v[110:111]
	v_add_f64 v[215:216], v[64:65], -v[60:61]
	v_add_f64 v[212:213], v[106:107], -v[70:71]
	v_add_f64 v[217:218], v[68:69], v[202:203]
	v_add_f64 v[70:71], v[70:71], v[106:107]
	v_add_f64 v[106:107], v[202:203], -v[68:69]
	v_add_f64 v[64:65], v[60:61], v[64:65]
	s_waitcnt vmcnt(7)
	v_add_f64 v[60:61], v[52:53], v[48:49]
	v_add_f64 v[68:69], v[54:55], v[50:51]
	v_add_f64 v[48:49], v[48:49], -v[52:53]
	v_add_f64 v[50:51], v[50:51], -v[54:55]
	v_add_f64 v[52:53], v[44:45], v[40:41]
	v_add_f64 v[54:55], v[46:47], v[42:43]
	v_fma_f64 v[72:73], v[76:77], s[14:15], v[72:73]
	v_add_f64 v[40:41], v[40:41], -v[44:45]
	v_add_f64 v[42:43], v[42:43], -v[46:47]
	v_add_f64 v[44:45], v[36:37], v[32:33]
	v_add_f64 v[46:47], v[38:39], v[34:35]
	v_add_f64 v[32:33], v[36:37], -v[32:33]
	v_add_f64 v[34:35], v[38:39], -v[34:35]
	v_add_f64 v[36:37], v[52:53], v[60:61]
	v_add_f64 v[38:39], v[54:55], v[68:69]
	;; [unrolled: 1-line block ×3, first 2 shown]
	v_add_f64 v[58:59], v[58:59], -v[72:73]
	v_add_f64 v[72:73], v[52:53], -v[60:61]
	;; [unrolled: 1-line block ×7, first 2 shown]
	v_add_f64 v[219:220], v[32:33], v[40:41]
	v_add_f64 v[221:222], v[34:35], v[42:43]
	v_add_f64 v[223:224], v[32:33], -v[40:41]
	v_add_f64 v[225:226], v[34:35], -v[42:43]
	v_add_f64 v[36:37], v[44:45], v[36:37]
	v_add_f64 v[38:39], v[46:47], v[38:39]
	v_add_f64 v[40:41], v[40:41], -v[48:49]
	v_add_f64 v[42:43], v[42:43], -v[50:51]
	;; [unrolled: 1-line block ×4, first 2 shown]
	v_add_f64 v[44:45], v[219:220], v[48:49]
	v_add_f64 v[46:47], v[221:222], v[50:51]
	;; [unrolled: 1-line block ×4, first 2 shown]
	v_mul_f64 v[30:31], v[60:61], s[4:5]
	v_mul_f64 v[48:49], v[68:69], s[4:5]
	;; [unrolled: 1-line block ×8, first 2 shown]
	v_fma_f64 v[36:37], v[36:37], s[20:21], v[28:29]
	v_fma_f64 v[38:39], v[38:39], s[20:21], v[220:221]
	;; [unrolled: 1-line block ×4, first 2 shown]
	v_fma_f64 v[50:51], v[72:73], s[6:7], -v[50:51]
	v_fma_f64 v[60:61], v[202:203], s[6:7], -v[60:61]
	;; [unrolled: 1-line block ×4, first 2 shown]
	v_fma_f64 v[72:73], v[32:33], s[24:25], v[68:69]
	v_fma_f64 v[202:203], v[34:35], s[24:25], v[222:223]
	v_fma_f64 v[32:33], v[32:33], s[22:23], -v[224:225]
	v_fma_f64 v[34:35], v[34:35], s[22:23], -v[226:227]
	;; [unrolled: 1-line block ×3, first 2 shown]
	v_add_f64 v[52:53], v[52:53], v[36:37]
	v_add_f64 v[50:51], v[50:51], v[36:37]
	;; [unrolled: 1-line block ×5, first 2 shown]
	v_fma_f64 v[32:33], v[44:45], s[14:15], v[32:33]
	v_fma_f64 v[34:35], v[46:47], s[14:15], v[34:35]
	v_fma_f64 v[42:43], v[42:43], s[0:1], -v[222:223]
	v_fma_f64 v[48:49], v[44:45], s[14:15], v[72:73]
	v_fma_f64 v[40:41], v[44:45], s[14:15], v[40:41]
	v_add_f64 v[44:45], v[80:81], -v[66:67]
	v_add_f64 v[60:61], v[60:61], v[38:39]
	v_add_f64 v[110:111], v[82:83], -v[78:79]
	v_add_f64 v[224:225], v[36:37], -v[32:33]
	v_add_f64 v[66:67], v[34:35], v[30:31]
	v_add_f64 v[30:31], v[30:31], -v[34:35]
	v_add_f64 v[233:234], v[32:33], v[36:37]
	s_waitcnt vmcnt(0)
	v_add_f64 v[32:33], v[24:25], v[20:21]
	v_add_f64 v[34:35], v[26:27], v[22:23]
	v_add_f64 v[20:21], v[20:21], -v[24:25]
	v_add_f64 v[22:23], v[22:23], -v[26:27]
	v_add_f64 v[24:25], v[16:17], v[12:13]
	v_add_f64 v[26:27], v[18:19], v[14:15]
	v_fma_f64 v[42:43], v[46:47], s[14:15], v[42:43]
	v_add_f64 v[12:13], v[12:13], -v[16:17]
	v_add_f64 v[14:15], v[14:15], -v[18:19]
	v_add_f64 v[16:17], v[8:9], v[4:5]
	v_add_f64 v[18:19], v[10:11], v[6:7]
	v_add_f64 v[4:5], v[8:9], -v[4:5]
	v_add_f64 v[6:7], v[10:11], -v[6:7]
	v_add_f64 v[8:9], v[24:25], v[32:33]
	v_add_f64 v[10:11], v[26:27], v[34:35]
	;; [unrolled: 1-line block ×3, first 2 shown]
	v_fma_f64 v[38:39], v[46:47], s[14:15], v[202:203]
	v_add_f64 v[202:203], v[78:79], v[82:83]
	v_add_f64 v[68:69], v[50:51], -v[42:43]
	v_add_f64 v[226:227], v[40:41], v[60:61]
	v_add_f64 v[42:43], v[42:43], v[50:51]
	v_add_f64 v[231:232], v[60:61], -v[40:41]
	v_add_f64 v[36:37], v[24:25], -v[32:33]
	v_add_f64 v[40:41], v[26:27], -v[34:35]
	v_add_f64 v[32:33], v[32:33], -v[16:17]
	v_add_f64 v[34:35], v[34:35], -v[18:19]
	v_add_f64 v[24:25], v[16:17], -v[24:25]
	v_add_f64 v[26:27], v[18:19], -v[26:27]
	v_add_f64 v[50:51], v[4:5], v[12:13]
	v_add_f64 v[60:61], v[6:7], v[14:15]
	v_add_f64 v[78:79], v[6:7], -v[14:15]
	v_add_f64 v[8:9], v[16:17], v[8:9]
	v_add_f64 v[10:11], v[18:19], v[10:11]
	v_add_f64 v[72:73], v[4:5], -v[12:13]
	v_add_f64 v[14:15], v[14:15], -v[22:23]
	;; [unrolled: 1-line block ×5, first 2 shown]
	v_add_f64 v[16:17], v[50:51], v[20:21]
	v_add_f64 v[18:19], v[60:61], v[22:23]
	;; [unrolled: 1-line block ×4, first 2 shown]
	v_mul_f64 v[2:3], v[32:33], s[4:5]
	v_mul_f64 v[20:21], v[34:35], s[4:5]
	;; [unrolled: 1-line block ×8, first 2 shown]
	v_fma_f64 v[8:9], v[8:9], s[20:21], v[0:1]
	v_fma_f64 v[10:11], v[10:11], s[20:21], v[235:236]
	;; [unrolled: 1-line block ×4, first 2 shown]
	v_fma_f64 v[22:23], v[36:37], s[6:7], -v[22:23]
	v_fma_f64 v[32:33], v[40:41], s[6:7], -v[32:33]
	v_fma_f64 v[2:3], v[36:37], s[8:9], -v[2:3]
	v_fma_f64 v[20:21], v[40:41], s[8:9], -v[20:21]
	v_fma_f64 v[40:41], v[6:7], s[24:25], v[50:51]
	v_fma_f64 v[14:15], v[14:15], s[0:1], -v[50:51]
	v_fma_f64 v[6:7], v[6:7], s[22:23], -v[72:73]
	v_fma_f64 v[36:37], v[4:5], s[24:25], v[34:35]
	v_fma_f64 v[4:5], v[4:5], s[22:23], -v[60:61]
	v_add_f64 v[24:25], v[24:25], v[8:9]
	v_add_f64 v[26:27], v[26:27], v[10:11]
	;; [unrolled: 1-line block ×6, first 2 shown]
	v_fma_f64 v[10:11], v[18:19], s[14:15], v[40:41]
	v_fma_f64 v[6:7], v[18:19], s[14:15], v[6:7]
	;; [unrolled: 1-line block ×3, first 2 shown]
	v_fma_f64 v[12:13], v[12:13], s[0:1], -v[34:35]
	v_fma_f64 v[4:5], v[16:17], s[14:15], v[4:5]
	v_add_f64 v[46:47], v[38:39], v[52:53]
	v_fma_f64 v[20:21], v[16:17], s[14:15], v[36:37]
	v_mad_u32_u24 v229, v204, 56, 0
	v_add_f64 v[18:19], v[10:11], v[24:25]
	v_add_f64 v[34:35], v[6:7], v[2:3]
	v_add_f64 v[36:37], v[22:23], -v[14:15]
	v_add_f64 v[14:15], v[14:15], v[22:23]
	v_add_f64 v[2:3], v[2:3], -v[6:7]
	v_fma_f64 v[12:13], v[16:17], s[14:15], v[12:13]
	v_add_f64 v[16:17], v[52:53], -v[38:39]
	v_add_f64 v[239:240], v[8:9], -v[4:5]
	v_add_f64 v[245:246], v[4:5], v[8:9]
	v_add_f64 v[4:5], v[24:25], -v[10:11]
	buffer_store_dword v249, off, s[36:39], 0 offset:44 ; 4-byte Folded Spill
	s_load_dwordx2 s[26:27], s[26:27], 0x0
	ds_write2_b64 v229, v[180:181], v[182:183] offset1:1
	ds_write2_b64 v229, v[184:185], v[186:187] offset0:2 offset1:3
	ds_write2_b64 v229, v[188:189], v[190:191] offset0:4 offset1:5
	ds_write_b64 v229, v[160:161] offset:48
	v_mad_i32_i24 v180, v249, 56, 0
	ds_write2_b64 v180, v[154:155], v[156:157] offset1:1
	ds_write2_b64 v180, v[158:159], v[162:163] offset0:2 offset1:3
	ds_write2_b64 v180, v[164:165], v[166:167] offset0:4 offset1:5
	ds_write_b64 v180, v[132:133] offset:48
	v_mad_i32_i24 v132, v205, 56, 0
	;; [unrolled: 5-line block ×3, first 2 shown]
	v_mad_i32_i24 v127, v208, 56, 0
	ds_write2_b64 v126, v[104:105], v[100:101] offset1:1
	ds_write2_b64 v126, v[102:103], v[200:201] offset0:2 offset1:3
	ds_write2_b64 v126, v[192:193], v[194:195] offset0:4 offset1:5
	ds_write_b64 v126, v[74:75] offset:48
	ds_write2_b64 v127, v[56:57], v[76:77] offset1:1
	ds_write2_b64 v127, v[210:211], v[212:213] offset0:2 offset1:3
	ds_write2_b64 v127, v[70:71], v[58:59] offset0:4 offset1:5
	ds_write_b64 v127, v[44:45] offset:48
	v_mad_i32_i24 v128, v209, 56, 0
	v_mad_i32_i24 v129, v214, 56, 0
	v_lshl_add_u32 v210, v204, 3, 0
	ds_write2_b64 v128, v[28:29], v[46:47] offset1:1
	ds_write2_b64 v128, v[66:67], v[68:69] offset0:2 offset1:3
	ds_write2_b64 v128, v[42:43], v[30:31] offset0:4 offset1:5
	ds_write_b64 v128, v[16:17] offset:48
	ds_write2_b64 v129, v[0:1], v[18:19] offset1:1
	ds_write2_b64 v129, v[34:35], v[36:37] offset0:2 offset1:3
	ds_write2_b64 v129, v[14:15], v[2:3] offset0:4 offset1:5
	ds_write_b64 v129, v[4:5] offset:48
	v_add_u32_e32 v0, 0x3c00, v210
	s_waitcnt lgkmcnt(0)
	; wave barrier
	s_waitcnt lgkmcnt(0)
	ds_read2_b64 v[4:7], v0 offset0:89 offset1:138
	v_add_u32_e32 v0, 0x1400, v210
	v_lshl_add_u32 v1, v249, 3, 0
	ds_read2_b64 v[154:157], v0 offset0:95 offset1:144
	v_mov_b32_e32 v131, v0
	v_lshl_add_u32 v0, v205, 3, 0
	s_movk_i32 s28, 0xffd0
	v_add_u32_e32 v206, 0x800, v210
	v_add_u32_e32 v228, 0x1000, v210
	;; [unrolled: 1-line block ×5, first 2 shown]
	buffer_store_dword v1, off, s[36:39], 0 offset:40 ; 4-byte Folded Spill
	v_add_u32_e32 v213, 0x4000, v210
	buffer_store_dword v0, off, s[36:39], 0 ; 4-byte Folded Spill
	v_add_u32_e32 v219, 0x3800, v210
	v_add_u32_e32 v211, 0x1800, v210
	;; [unrolled: 1-line block ×3, first 2 shown]
	v_mad_i32_i24 v68, v214, s28, v129
	v_add_f64 v[222:223], v[54:55], -v[48:49]
	v_add_f64 v[52:53], v[48:49], v[54:55]
	v_add_f64 v[237:238], v[26:27], -v[20:21]
	v_add_f64 v[241:242], v[12:13], v[32:33]
	v_add_f64 v[243:244], v[32:33], -v[12:13]
	v_add_f64 v[247:248], v[20:21], v[26:27]
	ds_read2_b64 v[80:83], v206 offset0:87 offset1:136
	ds_read2_b64 v[16:19], v228 offset0:125 offset1:174
	;; [unrolled: 1-line block ×10, first 2 shown]
	v_lshl_add_u32 v2, v207, 3, 0
	ds_read_b64 v[78:79], v210
	ds_read_b64 v[76:77], v1
	;; [unrolled: 1-line block ×4, first 2 shown]
	ds_read2_b64 v[44:47], v211 offset0:65 offset1:114
	ds_read2_b64 v[40:43], v69 offset0:111 offset1:160
	ds_read2_b64 v[36:39], v213 offset0:157 offset1:206
	v_lshl_add_u32 v66, v208, 3, 0
	ds_read2_b64 v[32:35], v228 offset0:27 offset1:76
	ds_read2_b64 v[28:31], v212 offset0:201 offset1:250
	;; [unrolled: 1-line block ×5, first 2 shown]
	v_add_u32_e32 v0, 0x4400, v210
	buffer_store_dword v68, off, s[36:39], 0 offset:20 ; 4-byte Folded Spill
	v_lshl_add_u32 v67, v209, 3, 0
	ds_read2_b64 v[0:3], v0 offset0:127 offset1:176
	ds_read_b64 v[70:71], v66
	ds_read_b64 v[133:134], v67
	s_waitcnt lgkmcnt(0)
	buffer_store_dword v133, off, s[36:39], 0 offset:32 ; 4-byte Folded Spill
	s_nop 0
	buffer_store_dword v134, off, s[36:39], 0 offset:36 ; 4-byte Folded Spill
	ds_read_b64 v[66:67], v68
	s_waitcnt lgkmcnt(0)
	; wave barrier
	s_waitcnt lgkmcnt(0)
	ds_write2_b64 v229, v[168:169], v[170:171] offset1:1
	ds_write2_b64 v229, v[172:173], v[174:175] offset0:2 offset1:3
	ds_write2_b64 v229, v[176:177], v[178:179] offset0:4 offset1:5
	ds_write_b64 v229, v[144:145] offset:48
	ds_write2_b64 v180, v[140:141], v[142:143] offset1:1
	ds_write2_b64 v180, v[146:147], v[148:149] offset0:2 offset1:3
	ds_write2_b64 v180, v[150:151], v[152:153] offset0:4 offset1:5
	ds_write_b64 v180, v[116:117] offset:48
	;; [unrolled: 4-line block ×6, first 2 shown]
	ds_write2_b64 v129, v[235:236], v[237:238] offset1:1
	ds_write2_b64 v129, v[239:240], v[241:242] offset0:2 offset1:3
	ds_write2_b64 v129, v[243:244], v[245:246] offset0:4 offset1:5
	v_mov_b32_e32 v106, 37
	v_mul_lo_u16_sdwa v52, v204, v106 dst_sel:DWORD dst_unused:UNUSED_PAD src0_sel:BYTE_0 src1_sel:DWORD
	v_sub_u16_sdwa v53, v204, v52 dst_sel:DWORD dst_unused:UNUSED_PAD src0_sel:DWORD src1_sel:BYTE_1
	v_lshrrev_b16_e32 v53, 1, v53
	v_and_b32_e32 v53, 0x7f, v53
	v_add_u16_sdwa v52, v53, v52 dst_sel:DWORD dst_unused:UNUSED_PAD src0_sel:DWORD src1_sel:BYTE_1
	v_lshrrev_b16_e32 v52, 2, v52
	buffer_store_dword v129, off, s[36:39], 0 offset:48 ; 4-byte Folded Spill
	ds_write_b64 v129, v[247:248] offset:48
	s_waitcnt lgkmcnt(0)
	; wave barrier
	s_waitcnt lgkmcnt(0)
	buffer_store_dword v52, off, s[36:39], 0 offset:4 ; 4-byte Folded Spill
	v_mul_lo_u16_e32 v52, 7, v52
	v_sub_u16_e32 v52, v204, v52
	v_mov_b32_e32 v107, 6
	buffer_store_dword v52, off, s[36:39], 0 offset:12 ; 4-byte Folded Spill
	v_mul_u32_u24_sdwa v52, v52, v107 dst_sel:DWORD dst_unused:UNUSED_PAD src0_sel:BYTE_0 src1_sel:DWORD
	v_lshlrev_b32_e32 v166, 4, v52
	global_load_dwordx4 v[62:65], v166, s[12:13]
	global_load_dwordx4 v[84:87], v166, s[12:13] offset:32
	global_load_dwordx4 v[88:91], v166, s[12:13] offset:64
	v_mul_lo_u16_sdwa v52, v249, v106 dst_sel:DWORD dst_unused:UNUSED_PAD src0_sel:BYTE_0 src1_sel:DWORD
	v_sub_u16_sdwa v53, v249, v52 dst_sel:DWORD dst_unused:UNUSED_PAD src0_sel:DWORD src1_sel:BYTE_1
	v_lshrrev_b16_e32 v53, 1, v53
	v_and_b32_e32 v53, 0x7f, v53
	v_add_u16_sdwa v52, v53, v52 dst_sel:DWORD dst_unused:UNUSED_PAD src0_sel:DWORD src1_sel:BYTE_1
	v_lshrrev_b16_e32 v52, 2, v52
	buffer_store_dword v52, off, s[36:39], 0 offset:24 ; 4-byte Folded Spill
	v_mul_lo_u16_e32 v52, 7, v52
	v_sub_u16_e32 v52, v249, v52
	buffer_store_dword v52, off, s[36:39], 0 offset:28 ; 4-byte Folded Spill
	v_mul_u32_u24_sdwa v52, v52, v107 dst_sel:DWORD dst_unused:UNUSED_PAD src0_sel:BYTE_0 src1_sel:DWORD
	v_lshlrev_b32_e32 v52, 4, v52
	global_load_dwordx4 v[92:95], v52, s[12:13]
	global_load_dwordx4 v[114:117], v52, s[12:13] offset:16
	global_load_dwordx4 v[118:121], v52, s[12:13] offset:32
	;; [unrolled: 1-line block ×5, first 2 shown]
	v_mul_lo_u16_sdwa v52, v205, v106 dst_sel:DWORD dst_unused:UNUSED_PAD src0_sel:BYTE_0 src1_sel:DWORD
	v_sub_u16_sdwa v53, v205, v52 dst_sel:DWORD dst_unused:UNUSED_PAD src0_sel:DWORD src1_sel:BYTE_1
	v_lshrrev_b16_e32 v53, 1, v53
	v_and_b32_e32 v53, 0x7f, v53
	v_add_u16_sdwa v52, v53, v52 dst_sel:DWORD dst_unused:UNUSED_PAD src0_sel:DWORD src1_sel:BYTE_1
	v_lshrrev_b16_e32 v235, 2, v52
	v_mul_lo_u16_e32 v52, 7, v235
	v_sub_u16_e32 v236, v205, v52
	v_mul_u32_u24_sdwa v52, v236, v107 dst_sel:DWORD dst_unused:UNUSED_PAD src0_sel:BYTE_0 src1_sel:DWORD
	v_lshlrev_b32_e32 v112, 4, v52
	global_load_dwordx4 v[168:171], v112, s[12:13]
	global_load_dwordx4 v[172:175], v112, s[12:13] offset:16
	ds_read2_b64 v[108:111], v206 offset0:87 offset1:136
	ds_read2_b64 v[122:125], v212 offset0:5 offset1:54
	global_load_dwordx4 v[176:179], v112, s[12:13] offset:48
	global_load_dwordx4 v[180:183], v112, s[12:13] offset:80
	ds_read2_b64 v[184:187], v230 offset0:179 offset1:228
	ds_read2_b64 v[188:191], v131 offset0:95 offset1:144
	;; [unrolled: 1-line block ×3, first 2 shown]
	global_load_dwordx4 v[200:203], v112, s[12:13] offset:32
	global_load_dwordx4 v[243:246], v112, s[12:13] offset:64
	s_movk_i32 s28, 0x2493
	v_mov_b32_e32 v229, v131
	s_waitcnt vmcnt(16) lgkmcnt(4)
	v_mul_f64 v[52:53], v[108:109], v[64:65]
	v_mul_f64 v[64:65], v[80:81], v[64:65]
	s_waitcnt vmcnt(15) lgkmcnt(3)
	v_mul_f64 v[96:97], v[122:123], v[86:87]
	v_fma_f64 v[134:135], v[80:81], v[62:63], -v[52:53]
	v_fma_f64 v[136:137], v[108:109], v[62:63], v[64:65]
	s_waitcnt vmcnt(14) lgkmcnt(2)
	v_mul_f64 v[62:63], v[184:185], v[90:91]
	v_mul_f64 v[64:65], v[102:103], v[90:91]
	v_mul_lo_u16_sdwa v90, v207, v106 dst_sel:DWORD dst_unused:UNUSED_PAD src0_sel:BYTE_0 src1_sel:DWORD
	v_sub_u16_sdwa v91, v207, v90 dst_sel:DWORD dst_unused:UNUSED_PAD src0_sel:DWORD src1_sel:BYTE_1
	v_lshrrev_b16_e32 v91, 1, v91
	v_and_b32_e32 v91, 0x7f, v91
	v_add_u16_sdwa v90, v91, v90 dst_sel:DWORD dst_unused:UNUSED_PAD src0_sel:DWORD src1_sel:BYTE_1
	v_lshrrev_b16_e32 v237, 2, v90
	v_mul_lo_u16_e32 v90, 7, v237
	v_sub_u16_e32 v238, v207, v90
	v_mul_u32_u24_sdwa v90, v238, v107 dst_sel:DWORD dst_unused:UNUSED_PAD src0_sel:BYTE_0 src1_sel:DWORD
	v_mul_f64 v[52:53], v[98:99], v[86:87]
	s_waitcnt vmcnt(11)
	v_mul_f64 v[80:81], v[110:111], v[94:95]
	v_mul_f64 v[86:87], v[82:83], v[94:95]
	v_lshlrev_b32_e32 v94, 4, v90
	global_load_dwordx4 v[247:250], v94, s[12:13]
	global_load_dwordx4 v[251:254], v94, s[12:13] offset:16
	s_waitcnt vmcnt(12) lgkmcnt(1)
	v_mul_f64 v[90:91], v[188:189], v[116:117]
	global_load_dwordx4 v[231:234], v94, s[12:13] offset:32
	v_fma_f64 v[138:139], v[122:123], v[84:85], v[52:53]
	v_mul_f64 v[52:53], v[154:155], v[116:117]
	v_fma_f64 v[112:113], v[110:111], v[92:93], v[86:87]
	v_fma_f64 v[108:109], v[82:83], v[92:93], -v[80:81]
	v_mul_lo_u16_sdwa v80, v208, v106 dst_sel:DWORD dst_unused:UNUSED_PAD src0_sel:BYTE_0 src1_sel:DWORD
	v_sub_u16_sdwa v81, v208, v80 dst_sel:DWORD dst_unused:UNUSED_PAD src0_sel:DWORD src1_sel:BYTE_1
	v_fma_f64 v[110:111], v[154:155], v[114:115], -v[90:91]
	global_load_dwordx4 v[152:155], v94, s[12:13] offset:64
	global_load_dwordx4 v[220:223], v94, s[12:13] offset:80
	v_lshrrev_b16_e32 v81, 1, v81
	v_and_b32_e32 v81, 0x7f, v81
	v_add_u16_sdwa v80, v81, v80 dst_sel:DWORD dst_unused:UNUSED_PAD src0_sel:DWORD src1_sel:BYTE_1
	v_lshrrev_b16_e32 v239, 2, v80
	v_mul_lo_u16_e32 v80, 7, v239
	v_sub_u16_e32 v240, v208, v80
	v_fma_f64 v[114:115], v[188:189], v[114:115], v[52:53]
	s_waitcnt vmcnt(12)
	v_mul_f64 v[52:53], v[186:187], v[146:147]
	v_mul_u32_u24_sdwa v80, v240, v107 dst_sel:DWORD dst_unused:UNUSED_PAD src0_sel:BYTE_0 src1_sel:DWORD
	v_lshlrev_b32_e32 v215, 4, v80
	v_fma_f64 v[132:133], v[98:99], v[84:85], -v[96:97]
	v_mul_f64 v[84:85], v[124:125], v[120:121]
	v_mul_f64 v[86:87], v[100:101], v[120:121]
	global_load_dwordx4 v[80:83], v215, s[12:13] offset:16
	v_mul_f64 v[90:91], v[104:105], v[146:147]
	v_fma_f64 v[140:141], v[102:103], v[88:89], -v[62:63]
	v_fma_f64 v[142:143], v[184:185], v[88:89], v[64:65]
	global_load_dwordx4 v[62:65], v94, s[12:13] offset:48
	ds_read2_b64 v[94:97], v213 offset0:59 offset1:108
	ds_read2_b64 v[224:227], v206 offset0:185 offset1:234
	s_waitcnt lgkmcnt(2)
	v_mul_f64 v[88:89], v[192:193], v[128:129]
	v_fma_f64 v[122:123], v[104:105], v[144:145], -v[52:53]
	v_fma_f64 v[116:117], v[100:101], v[118:119], -v[84:85]
	s_waitcnt vmcnt(13) lgkmcnt(1)
	v_mul_f64 v[52:53], v[94:95], v[150:151]
	v_fma_f64 v[118:119], v[124:125], v[118:119], v[86:87]
	v_fma_f64 v[124:125], v[186:187], v[144:145], v[90:91]
	global_load_dwordx4 v[184:187], v215, s[12:13] offset:48
	v_mul_f64 v[84:85], v[158:159], v[128:129]
	v_fma_f64 v[120:121], v[158:159], v[126:127], -v[88:89]
	s_waitcnt vmcnt(13) lgkmcnt(0)
	v_mul_f64 v[88:89], v[224:225], v[170:171]
	s_waitcnt vmcnt(12)
	v_mul_f64 v[90:91], v[190:191], v[174:175]
	v_fma_f64 v[128:129], v[162:163], v[148:149], -v[52:53]
	s_waitcnt vmcnt(11)
	v_mul_f64 v[52:53], v[194:195], v[178:179]
	v_mul_f64 v[86:87], v[162:163], v[150:151]
	;; [unrolled: 1-line block ×3, first 2 shown]
	v_fma_f64 v[126:127], v[192:193], v[126:127], v[84:85]
	v_mul_f64 v[98:99], v[54:55], v[170:171]
	ds_read2_b64 v[144:147], v212 offset0:103 offset1:152
	v_fma_f64 v[84:85], v[156:157], v[172:173], -v[90:91]
	v_fma_f64 v[90:91], v[54:55], v[168:169], -v[88:89]
	v_mul_f64 v[54:55], v[160:161], v[178:179]
	v_fma_f64 v[88:89], v[160:161], v[176:177], -v[52:53]
	v_mul_u32_u24_sdwa v52, v209, s28 dst_sel:DWORD dst_unused:UNUSED_PAD src0_sel:WORD_0 src1_sel:DWORD
	v_sub_u16_sdwa v53, v209, v52 dst_sel:DWORD dst_unused:UNUSED_PAD src0_sel:DWORD src1_sel:WORD_1
	v_lshrrev_b16_e32 v53, 1, v53
	v_fma_f64 v[130:131], v[94:95], v[148:149], v[86:87]
	v_fma_f64 v[86:87], v[190:191], v[172:173], v[92:93]
	global_load_dwordx4 v[170:173], v215, s[12:13] offset:80
	v_add_u16_sdwa v52, v53, v52 dst_sel:DWORD dst_unused:UNUSED_PAD src0_sel:DWORD src1_sel:WORD_1
	v_lshrrev_b16_e32 v241, 2, v52
	s_waitcnt vmcnt(11)
	v_mul_f64 v[94:95], v[96:97], v[182:183]
	global_load_dwordx4 v[188:191], v215, s[12:13]
	v_mul_lo_u16_e32 v100, 7, v241
	v_sub_u16_e32 v242, v209, v100
	v_fma_f64 v[92:93], v[194:195], v[176:177], v[54:55]
	v_mul_u32_u24_e32 v54, 6, v242
	v_mul_f64 v[52:53], v[164:165], v[182:183]
	v_lshlrev_b32_e32 v167, 4, v54
	s_waitcnt vmcnt(11) lgkmcnt(0)
	v_mul_f64 v[54:55], v[144:145], v[202:203]
	v_fma_f64 v[94:95], v[164:165], v[180:181], -v[94:95]
	v_mul_f64 v[104:105], v[58:59], v[202:203]
	global_load_dwordx4 v[162:165], v167, s[12:13]
	ds_read2_b64 v[148:151], v219 offset0:21 offset1:70
	s_waitcnt vmcnt(11)
	v_mul_f64 v[156:157], v[48:49], v[245:246]
	v_fma_f64 v[100:101], v[96:97], v[180:181], v[52:53]
	v_fma_f64 v[102:103], v[224:225], v[168:169], v[98:99]
	v_fma_f64 v[96:97], v[58:59], v[200:201], -v[54:55]
	global_load_dwordx4 v[52:55], v215, s[12:13] offset:32
	s_waitcnt vmcnt(11)
	v_mul_f64 v[158:159], v[226:227], v[249:250]
	s_waitcnt lgkmcnt(0)
	v_mul_f64 v[106:107], v[148:149], v[245:246]
	v_fma_f64 v[98:99], v[144:145], v[200:201], v[104:105]
	v_mul_f64 v[144:145], v[56:57], v[249:250]
	global_load_dwordx4 v[178:181], v215, s[12:13] offset:64
	global_load_dwordx4 v[200:203], v167, s[12:13] offset:64
	ds_read2_b64 v[192:195], v69 offset0:111 offset1:160
	global_load_dwordx4 v[174:177], v166, s[12:13] offset:16
	v_fma_f64 v[245:246], v[56:57], v[247:248], -v[158:159]
	global_load_dwordx4 v[56:59], v167, s[12:13] offset:32
	v_fma_f64 v[104:105], v[48:49], v[243:244], -v[106:107]
	v_fma_f64 v[106:107], v[148:149], v[243:244], v[156:157]
	s_waitcnt vmcnt(13)
	v_mul_f64 v[148:149], v[60:61], v[233:234]
	s_waitcnt vmcnt(12)
	v_mul_f64 v[160:161], v[150:151], v[154:155]
	v_mul_f64 v[48:49], v[146:147], v[233:234]
	;; [unrolled: 1-line block ×3, first 2 shown]
	v_fma_f64 v[233:234], v[226:227], v[247:248], v[144:145]
	ds_read2_b64 v[156:159], v211 offset0:65 offset1:114
	ds_read2_b64 v[224:227], v213 offset0:157 offset1:206
	v_add_u32_e32 v247, 0x3c00, v210
	v_fma_f64 v[144:145], v[146:147], v[231:232], v[148:149]
	v_fma_f64 v[146:147], v[50:51], v[152:153], -v[160:161]
	v_mul_f64 v[50:51], v[44:45], v[253:254]
	v_fma_f64 v[48:49], v[60:61], v[231:232], -v[48:49]
	s_waitcnt lgkmcnt(1)
	v_mul_f64 v[60:61], v[156:157], v[253:254]
	v_fma_f64 v[148:149], v[150:151], v[152:153], v[154:155]
	s_waitcnt vmcnt(10)
	v_mul_f64 v[154:155], v[158:159], v[82:83]
	v_mul_u32_u24_sdwa v150, v214, s28 dst_sel:DWORD dst_unused:UNUSED_PAD src0_sel:WORD_0 src1_sel:DWORD
	v_mul_f64 v[82:83], v[46:47], v[82:83]
	v_sub_u16_sdwa v151, v214, v150 dst_sel:DWORD dst_unused:UNUSED_PAD src0_sel:DWORD src1_sel:WORD_1
	v_fma_f64 v[152:153], v[156:157], v[251:252], v[50:51]
	s_waitcnt vmcnt(9)
	v_mul_f64 v[156:157], v[192:193], v[64:65]
	v_mul_f64 v[64:65], v[40:41], v[64:65]
	v_lshrrev_b16_e32 v151, 1, v151
	v_add_u16_sdwa v150, v151, v150 dst_sel:DWORD dst_unused:UNUSED_PAD src0_sel:DWORD src1_sel:WORD_1
	v_lshrrev_b16_e32 v243, 2, v150
	v_mul_lo_u16_e32 v150, 7, v243
	v_sub_u16_e32 v244, v214, v150
	v_fma_f64 v[150:151], v[44:45], v[251:252], -v[60:61]
	v_fma_f64 v[50:51], v[46:47], v[80:81], -v[154:155]
	v_mul_u32_u24_e32 v44, 6, v244
	s_waitcnt vmcnt(8)
	v_mul_f64 v[45:46], v[194:195], v[186:187]
	v_lshlrev_b32_e32 v44, 4, v44
	v_fma_f64 v[60:61], v[158:159], v[80:81], v[82:83]
	global_load_dwordx4 v[80:83], v44, s[12:13]
	v_fma_f64 v[154:155], v[40:41], v[62:63], -v[156:157]
	v_fma_f64 v[156:157], v[192:193], v[62:63], v[64:65]
	v_mul_f64 v[62:63], v[42:43], v[186:187]
	s_waitcnt lgkmcnt(0)
	v_mul_f64 v[64:65], v[224:225], v[222:223]
	v_fma_f64 v[40:41], v[42:43], v[184:185], -v[45:46]
	v_mul_f64 v[45:46], v[36:37], v[222:223]
	v_add_u32_e32 v248, 0x4400, v210
	buffer_load_dword v249, off, s[36:39], 0 offset:40 ; 4-byte Folded Reload
	buffer_load_dword v231, off, s[36:39], 0 ; 4-byte Folded Reload
	v_lshl_add_u32 v232, v208, 3, 0
	v_fma_f64 v[42:43], v[194:195], v[184:185], v[62:63]
	global_load_dwordx4 v[182:185], v167, s[12:13] offset:16
	ds_read2_b64 v[192:195], v228 offset0:27 offset1:76
	v_fma_f64 v[158:159], v[36:37], v[220:221], -v[64:65]
	s_waitcnt vmcnt(11)
	v_mul_f64 v[62:63], v[226:227], v[172:173]
	v_mul_f64 v[168:169], v[38:39], v[172:173]
	v_fma_f64 v[160:161], v[224:225], v[220:221], v[45:46]
	global_load_dwordx4 v[220:223], v44, s[12:13] offset:16
	s_waitcnt vmcnt(11) lgkmcnt(0)
	v_mul_f64 v[45:46], v[192:193], v[190:191]
	v_mul_f64 v[64:65], v[32:33], v[190:191]
	v_lshl_add_u32 v250, v207, 3, 0
	s_movk_i32 s28, 0x4f
	v_fma_f64 v[36:37], v[38:39], v[170:171], -v[62:63]
	v_fma_f64 v[38:39], v[226:227], v[170:171], v[168:169]
	ds_read2_b64 v[168:171], v212 offset0:201 offset1:250
	v_lshl_add_u32 v227, v209, 3, 0
	v_fma_f64 v[62:63], v[32:33], v[188:189], -v[45:46]
	v_fma_f64 v[64:65], v[192:193], v[188:189], v[64:65]
	s_waitcnt vmcnt(10)
	v_mul_f64 v[32:33], v[194:195], v[164:165]
	v_mul_f64 v[45:46], v[34:35], v[164:165]
	global_load_dwordx4 v[188:191], v166, s[12:13] offset:48
	s_waitcnt vmcnt(10) lgkmcnt(0)
	v_mul_f64 v[164:165], v[168:169], v[54:55]
	v_mul_f64 v[54:55], v[28:29], v[54:55]
	v_fma_f64 v[32:33], v[34:35], v[162:163], -v[32:33]
	v_fma_f64 v[34:35], v[194:195], v[162:163], v[45:46]
	ds_read2_b64 v[192:195], v219 offset0:119 offset1:168
	v_fma_f64 v[162:163], v[28:29], v[52:53], -v[164:165]
	v_fma_f64 v[164:165], v[168:169], v[52:53], v[54:55]
	s_waitcnt vmcnt(6)
	v_mul_f64 v[45:46], v[170:171], v[58:59]
	global_load_dwordx4 v[52:55], v44, s[12:13] offset:32
	v_mul_f64 v[58:59], v[30:31], v[58:59]
	s_waitcnt lgkmcnt(0)
	v_mul_f64 v[172:173], v[194:195], v[202:203]
	v_fma_f64 v[28:29], v[30:31], v[56:57], -v[45:46]
	v_mul_f64 v[45:46], v[192:193], v[180:181]
	v_fma_f64 v[30:31], v[170:171], v[56:57], v[58:59]
	v_mul_f64 v[170:171], v[24:25], v[180:181]
	global_load_dwordx4 v[56:59], v166, s[12:13] offset:80
	v_fma_f64 v[168:169], v[24:25], v[178:179], -v[45:46]
	v_mul_f64 v[45:46], v[26:27], v[202:203]
	v_fma_f64 v[170:171], v[192:193], v[178:179], v[170:171]
	v_fma_f64 v[24:25], v[26:27], v[200:201], -v[172:173]
	ds_read2_b64 v[178:181], v228 offset0:125 offset1:174
	v_fma_f64 v[26:27], v[194:195], v[200:201], v[45:46]
	global_load_dwordx4 v[200:203], v44, s[12:13] offset:48
	global_load_dwordx4 v[192:195], v167, s[12:13] offset:48
	s_waitcnt lgkmcnt(0)
	v_mul_f64 v[172:173], v[180:181], v[176:177]
	v_mul_f64 v[45:46], v[18:19], v[176:177]
	s_waitcnt vmcnt(9)
	v_mul_f64 v[176:177], v[178:179], v[82:83]
	v_fma_f64 v[215:216], v[18:19], v[174:175], -v[172:173]
	v_mul_f64 v[18:19], v[16:17], v[82:83]
	v_fma_f64 v[45:46], v[180:181], v[174:175], v[45:46]
	ds_read2_b64 v[172:175], v211 offset0:163 offset1:212
	v_fma_f64 v[16:17], v[16:17], v[80:81], -v[176:177]
	v_fma_f64 v[18:19], v[178:179], v[80:81], v[18:19]
	global_load_dwordx4 v[80:83], v167, s[12:13] offset:80
	s_waitcnt vmcnt(7) lgkmcnt(0)
	v_mul_f64 v[176:177], v[172:173], v[184:185]
	v_mul_f64 v[178:179], v[20:21], v[184:185]
	s_waitcnt vmcnt(6)
	v_mul_f64 v[166:167], v[22:23], v[222:223]
	v_fma_f64 v[184:185], v[20:21], v[182:183], -v[176:177]
	v_mul_f64 v[20:21], v[174:175], v[222:223]
	global_load_dwordx4 v[222:225], v44, s[12:13] offset:64
	v_fma_f64 v[186:187], v[172:173], v[182:183], v[178:179]
	v_fma_f64 v[166:167], v[174:175], v[220:221], v[166:167]
	ds_read2_b64 v[174:177], v255 offset0:43 offset1:92
	v_fma_f64 v[20:21], v[22:23], v[220:221], -v[20:21]
	s_waitcnt vmcnt(6)
	v_mul_f64 v[172:173], v[14:15], v[190:191]
	s_waitcnt lgkmcnt(0)
	v_mul_f64 v[22:23], v[176:177], v[190:191]
	v_fma_f64 v[217:218], v[176:177], v[188:189], v[172:173]
	v_fma_f64 v[22:23], v[14:15], v[188:189], -v[22:23]
	s_waitcnt vmcnt(5)
	v_mul_f64 v[14:15], v[174:175], v[54:55]
	v_mul_f64 v[54:55], v[12:13], v[54:55]
	v_fma_f64 v[172:173], v[12:13], v[52:53], -v[14:15]
	ds_read2_b64 v[12:15], v247 offset0:89 offset1:138
	v_fma_f64 v[174:175], v[174:175], v[52:53], v[54:55]
	ds_read2_b64 v[52:55], v230 offset0:81 offset1:130
	s_waitcnt vmcnt(4) lgkmcnt(1)
	v_mul_f64 v[176:177], v[14:15], v[58:59]
	v_mul_f64 v[58:59], v[6:7], v[58:59]
	v_fma_f64 v[220:221], v[6:7], v[56:57], -v[176:177]
	v_fma_f64 v[14:15], v[14:15], v[56:57], v[58:59]
	v_add_f64 v[58:59], v[215:216], -v[140:141]
	s_waitcnt vmcnt(2)
	v_mul_f64 v[56:57], v[8:9], v[194:195]
	s_waitcnt lgkmcnt(0)
	v_mul_f64 v[6:7], v[52:53], v[194:195]
	v_fma_f64 v[190:191], v[52:53], v[192:193], v[56:57]
	v_mul_f64 v[52:53], v[10:11], v[202:203]
	v_fma_f64 v[188:189], v[8:9], v[192:193], -v[6:7]
	v_mul_f64 v[6:7], v[54:55], v[202:203]
	v_fma_f64 v[178:179], v[54:55], v[200:201], v[52:53]
	global_load_dwordx4 v[52:55], v44, s[12:13] offset:80
	v_fma_f64 v[176:177], v[10:11], v[200:201], -v[6:7]
	ds_read2_b64 v[6:9], v248 offset0:127 offset1:176
	s_waitcnt vmcnt(2)
	v_mul_f64 v[56:57], v[0:1], v[82:83]
	s_waitcnt lgkmcnt(0)
	v_mul_f64 v[10:11], v[6:7], v[82:83]
	v_add_f64 v[82:83], v[217:218], -v[138:139]
	v_fma_f64 v[202:203], v[6:7], v[80:81], v[56:57]
	s_waitcnt vmcnt(1)
	v_mul_f64 v[6:7], v[4:5], v[224:225]
	v_add_f64 v[56:57], v[45:46], v[142:143]
	v_add_f64 v[44:45], v[45:46], -v[142:143]
	v_fma_f64 v[200:201], v[0:1], v[80:81], -v[10:11]
	v_mul_f64 v[0:1], v[12:13], v[224:225]
	v_add_f64 v[46:47], v[132:133], v[22:23]
	v_add_f64 v[80:81], v[138:139], v[217:218]
	v_add_f64 v[22:23], v[22:23], -v[132:133]
	v_fma_f64 v[182:183], v[12:13], v[222:223], v[6:7]
	v_add_f64 v[6:7], v[134:135], -v[220:221]
	v_add_f64 v[12:13], v[136:137], -v[14:15]
	v_add_f64 v[142:143], v[82:83], v[44:45]
	v_fma_f64 v[180:181], v[4:5], v[222:223], -v[0:1]
	v_add_f64 v[4:5], v[136:137], v[14:15]
	v_add_f64 v[0:1], v[134:135], v[220:221]
	;; [unrolled: 1-line block ×4, first 2 shown]
	ds_read_b64 v[10:11], v210
	ds_read_b64 v[217:218], v232
	v_add_f64 v[192:193], v[44:45], -v[12:13]
	v_add_f64 v[134:135], v[56:57], v[4:5]
	v_add_f64 v[138:139], v[56:57], -v[4:5]
	v_add_f64 v[132:133], v[14:15], v[0:1]
	v_add_f64 v[136:137], v[14:15], -v[0:1]
	v_add_f64 v[0:1], v[0:1], -v[46:47]
	;; [unrolled: 1-line block ×5, first 2 shown]
	v_add_f64 v[80:81], v[80:81], v[134:135]
	v_add_f64 v[134:135], v[82:83], -v[44:45]
	v_add_f64 v[46:47], v[46:47], v[132:133]
	v_add_f64 v[132:133], v[22:23], -v[58:59]
	v_add_f64 v[22:23], v[6:7], -v[22:23]
	;; [unrolled: 1-line block ×4, first 2 shown]
	v_add_f64 v[6:7], v[140:141], v[6:7]
	v_add_f64 v[12:13], v[142:143], v[12:13]
	v_mul_f64 v[140:141], v[0:1], s[4:5]
	v_mul_f64 v[142:143], v[14:15], s[16:17]
	s_waitcnt lgkmcnt(1)
	v_add_f64 v[44:45], v[10:11], v[80:81]
	v_mul_f64 v[4:5], v[4:5], s[4:5]
	v_mul_f64 v[10:11], v[56:57], s[16:17]
	v_add_f64 v[0:1], v[78:79], v[46:47]
	v_mul_f64 v[78:79], v[132:133], s[18:19]
	v_mul_f64 v[132:133], v[134:135], s[18:19]
	v_fma_f64 v[14:15], v[14:15], s[16:17], v[140:141]
	v_fma_f64 v[134:135], v[136:137], s[6:7], -v[142:143]
	v_fma_f64 v[136:137], v[136:137], s[8:9], -v[140:141]
	v_mul_f64 v[140:141], v[58:59], s[0:1]
	v_fma_f64 v[56:57], v[56:57], s[16:17], v[4:5]
	v_fma_f64 v[10:11], v[138:139], s[6:7], -v[10:11]
	v_fma_f64 v[4:5], v[138:139], s[8:9], -v[4:5]
	v_mul_f64 v[138:139], v[192:193], s[0:1]
	v_fma_f64 v[46:47], v[46:47], s[20:21], v[0:1]
	v_fma_f64 v[58:59], v[58:59], s[0:1], -v[78:79]
	v_fma_f64 v[78:79], v[22:23], s[24:25], v[78:79]
	v_fma_f64 v[22:23], v[22:23], s[22:23], -v[140:141]
	;; [unrolled: 2-line block ×4, first 2 shown]
	v_add_f64 v[14:15], v[14:15], v[46:47]
	v_add_f64 v[134:135], v[134:135], v[46:47]
	v_add_f64 v[136:137], v[136:137], v[46:47]
	v_fma_f64 v[22:23], v[6:7], s[14:15], v[22:23]
	v_add_f64 v[215:216], v[56:57], v[80:81]
	v_add_f64 v[10:11], v[10:11], v[80:81]
	s_waitcnt vmcnt(0)
	v_mul_f64 v[46:47], v[8:9], v[54:55]
	v_add_f64 v[56:57], v[4:5], v[80:81]
	v_mul_f64 v[4:5], v[2:3], v[54:55]
	v_fma_f64 v[80:81], v[12:13], s[14:15], v[132:133]
	v_fma_f64 v[54:55], v[12:13], s[14:15], v[142:143]
	v_fma_f64 v[12:13], v[12:13], s[14:15], v[82:83]
	v_fma_f64 v[58:59], v[6:7], s[14:15], v[58:59]
	v_fma_f64 v[78:79], v[6:7], s[14:15], v[78:79]
	v_fma_f64 v[192:193], v[2:3], v[52:53], -v[46:47]
	v_add_f64 v[46:47], v[56:57], -v[22:23]
	v_fma_f64 v[194:195], v[8:9], v[52:53], v[4:5]
	v_add_f64 v[2:3], v[80:81], v[14:15]
	v_add_f64 v[6:7], v[134:135], -v[54:55]
	v_add_f64 v[4:5], v[12:13], v[136:137]
	v_add_f64 v[52:53], v[58:59], v[10:11]
	;; [unrolled: 1-line block ×3, first 2 shown]
	v_add_f64 v[54:55], v[10:11], -v[58:59]
	v_add_f64 v[10:11], v[136:137], -v[12:13]
	v_add_f64 v[56:57], v[22:23], v[56:57]
	v_add_f64 v[12:13], v[14:15], -v[80:81]
	v_add_f64 v[14:15], v[108:109], v[128:129]
	v_add_f64 v[22:23], v[112:113], v[130:131]
	v_add_f64 v[58:59], v[108:109], -v[128:129]
	v_add_f64 v[80:81], v[112:113], -v[130:131]
	v_add_f64 v[108:109], v[110:111], v[122:123]
	v_add_f64 v[112:113], v[114:115], v[124:125]
	v_add_f64 v[110:111], v[110:111], -v[122:123]
	v_add_f64 v[122:123], v[116:117], v[120:121]
	v_add_f64 v[114:115], v[114:115], -v[124:125]
	;; [unrolled: 2-line block ×3, first 2 shown]
	v_add_f64 v[118:119], v[126:127], -v[118:119]
	v_add_f64 v[120:121], v[108:109], v[14:15]
	v_add_f64 v[126:127], v[112:113], v[22:23]
	v_add_f64 v[128:129], v[108:109], -v[14:15]
	v_add_f64 v[14:15], v[14:15], -v[122:123]
	;; [unrolled: 1-line block ×6, first 2 shown]
	v_add_f64 v[132:133], v[116:117], v[110:111]
	v_add_f64 v[134:135], v[118:119], v[114:115]
	;; [unrolled: 1-line block ×3, first 2 shown]
	v_add_f64 v[122:123], v[116:117], -v[110:111]
	v_add_f64 v[124:125], v[124:125], v[126:127]
	v_add_f64 v[126:127], v[118:119], -v[114:115]
	v_add_f64 v[110:111], v[110:111], -v[58:59]
	v_mul_f64 v[136:137], v[14:15], s[4:5]
	ds_read_b64 v[140:141], v249
	ds_read_b64 v[82:83], v250
	;; [unrolled: 1-line block ×3, first 2 shown]
	v_add_f64 v[116:117], v[58:59], -v[116:117]
	v_add_f64 v[118:119], v[80:81], -v[118:119]
	;; [unrolled: 1-line block ×3, first 2 shown]
	v_add_f64 v[132:133], v[132:133], v[58:59]
	v_mul_f64 v[142:143], v[108:109], s[16:17]
	v_add_f64 v[80:81], v[134:135], v[80:81]
	v_mul_f64 v[22:23], v[22:23], s[4:5]
	v_mul_f64 v[134:135], v[112:113], s[16:17]
	v_add_f64 v[14:15], v[76:77], v[120:121]
	s_waitcnt lgkmcnt(2)
	v_add_f64 v[58:59], v[140:141], v[124:125]
	v_mul_f64 v[76:77], v[122:123], s[18:19]
	v_fma_f64 v[122:123], v[108:109], s[16:17], v[136:137]
	v_mul_f64 v[108:109], v[110:111], s[0:1]
	v_mul_f64 v[126:127], v[126:127], s[18:19]
	v_fma_f64 v[140:141], v[128:129], s[6:7], -v[142:143]
	v_fma_f64 v[128:129], v[128:129], s[8:9], -v[136:137]
	v_fma_f64 v[112:113], v[112:113], s[16:17], v[22:23]
	v_fma_f64 v[134:135], v[130:131], s[6:7], -v[134:135]
	v_fma_f64 v[22:23], v[130:131], s[8:9], -v[22:23]
	v_mul_f64 v[130:131], v[114:115], s[0:1]
	v_fma_f64 v[120:121], v[120:121], s[20:21], v[14:15]
	v_fma_f64 v[124:125], v[124:125], s[20:21], v[58:59]
	v_fma_f64 v[110:111], v[110:111], s[0:1], -v[76:77]
	v_fma_f64 v[76:77], v[116:117], s[24:25], v[76:77]
	v_fma_f64 v[116:117], v[116:117], s[22:23], -v[108:109]
	v_fma_f64 v[114:115], v[114:115], s[0:1], -v[126:127]
	v_add_f64 v[108:109], v[215:216], -v[78:79]
	v_fma_f64 v[130:131], v[118:119], s[22:23], -v[130:131]
	v_fma_f64 v[118:119], v[118:119], s[24:25], v[126:127]
	v_add_f64 v[122:123], v[122:123], v[120:121]
	v_add_f64 v[126:127], v[140:141], v[120:121]
	;; [unrolled: 1-line block ×4, first 2 shown]
	v_fma_f64 v[136:137], v[132:133], s[14:15], v[116:117]
	v_fma_f64 v[116:117], v[80:81], s[14:15], v[114:115]
	v_add_f64 v[134:135], v[134:135], v[124:125]
	v_fma_f64 v[130:131], v[80:81], s[14:15], v[130:131]
	v_fma_f64 v[140:141], v[132:133], s[14:15], v[110:111]
	;; [unrolled: 1-line block ×3, first 2 shown]
	v_add_f64 v[110:111], v[78:79], v[215:216]
	v_add_f64 v[124:125], v[112:113], v[124:125]
	v_fma_f64 v[132:133], v[132:133], s[14:15], v[76:77]
	v_add_f64 v[112:113], v[128:129], -v[136:137]
	v_add_f64 v[76:77], v[126:127], -v[116:117]
	v_add_f64 v[78:79], v[116:117], v[126:127]
	v_add_f64 v[118:119], v[136:137], v[128:129]
	v_add_f64 v[126:127], v[90:91], v[94:95]
	v_add_f64 v[128:129], v[102:103], v[100:101]
	v_add_f64 v[90:91], v[90:91], -v[94:95]
	v_add_f64 v[94:95], v[102:103], -v[100:101]
	v_add_f64 v[100:101], v[84:85], v[104:105]
	v_add_f64 v[102:103], v[86:87], v[106:107]
	v_add_f64 v[84:85], v[84:85], -v[104:105]
	v_add_f64 v[104:105], v[96:97], v[88:89]
	v_add_f64 v[22:23], v[130:131], v[120:121]
	v_add_f64 v[120:121], v[120:121], -v[130:131]
	v_add_f64 v[86:87], v[86:87], -v[106:107]
	v_add_f64 v[106:107], v[98:99], v[92:93]
	v_add_f64 v[88:89], v[88:89], -v[96:97]
	v_add_f64 v[92:93], v[92:93], -v[98:99]
	v_add_f64 v[96:97], v[100:101], v[126:127]
	v_add_f64 v[98:99], v[102:103], v[128:129]
	v_add_f64 v[130:131], v[100:101], -v[126:127]
	v_add_f64 v[126:127], v[126:127], -v[104:105]
	;; [unrolled: 1-line block ×3, first 2 shown]
	v_add_f64 v[114:115], v[140:141], v[134:135]
	v_add_f64 v[116:117], v[134:135], -v[140:141]
	v_add_f64 v[134:135], v[102:103], -v[128:129]
	;; [unrolled: 1-line block ×4, first 2 shown]
	v_add_f64 v[136:137], v[88:89], v[84:85]
	v_add_f64 v[140:141], v[92:93], v[86:87]
	;; [unrolled: 1-line block ×3, first 2 shown]
	v_add_f64 v[104:105], v[88:89], -v[84:85]
	v_add_f64 v[98:99], v[106:107], v[98:99]
	v_add_f64 v[106:107], v[92:93], -v[86:87]
	v_add_f64 v[142:143], v[84:85], -v[90:91]
	;; [unrolled: 1-line block ×3, first 2 shown]
	v_mul_f64 v[86:87], v[126:127], s[4:5]
	v_mul_f64 v[126:127], v[100:101], s[16:17]
	v_add_f64 v[88:89], v[90:91], -v[88:89]
	v_add_f64 v[92:93], v[94:95], -v[92:93]
	v_add_f64 v[90:91], v[136:137], v[90:91]
	v_add_f64 v[84:85], v[74:75], v[96:97]
	s_waitcnt lgkmcnt(0)
	v_add_f64 v[74:75], v[138:139], v[98:99]
	v_mul_f64 v[128:129], v[128:129], s[4:5]
	v_mul_f64 v[136:137], v[102:103], s[16:17]
	;; [unrolled: 1-line block ×4, first 2 shown]
	v_fma_f64 v[100:101], v[100:101], s[16:17], v[86:87]
	v_fma_f64 v[126:127], v[130:131], s[6:7], -v[126:127]
	v_fma_f64 v[130:131], v[130:131], s[8:9], -v[86:87]
	v_mul_f64 v[86:87], v[142:143], s[0:1]
	v_add_f64 v[94:95], v[140:141], v[94:95]
	v_fma_f64 v[102:103], v[102:103], s[16:17], v[128:129]
	v_fma_f64 v[136:137], v[134:135], s[6:7], -v[136:137]
	v_fma_f64 v[128:129], v[134:135], s[8:9], -v[128:129]
	v_mul_f64 v[134:135], v[215:216], s[0:1]
	v_fma_f64 v[96:97], v[96:97], s[20:21], v[84:85]
	v_fma_f64 v[138:139], v[98:99], s[20:21], v[74:75]
	v_fma_f64 v[140:141], v[142:143], s[0:1], -v[104:105]
	v_fma_f64 v[104:105], v[88:89], s[24:25], v[104:105]
	v_fma_f64 v[88:89], v[88:89], s[22:23], -v[86:87]
	v_fma_f64 v[142:143], v[215:216], s[0:1], -v[106:107]
	v_fma_f64 v[106:107], v[92:93], s[24:25], v[106:107]
	v_fma_f64 v[92:93], v[92:93], s[22:23], -v[134:135]
	v_add_f64 v[134:135], v[100:101], v[96:97]
	v_add_f64 v[215:216], v[102:103], v[138:139]
	;; [unrolled: 1-line block ×6, first 2 shown]
	v_fma_f64 v[138:139], v[94:95], s[14:15], v[106:107]
	v_fma_f64 v[222:223], v[90:91], s[14:15], v[88:89]
	;; [unrolled: 1-line block ×4, first 2 shown]
	v_add_f64 v[86:87], v[80:81], v[122:123]
	v_fma_f64 v[220:221], v[94:95], s[14:15], v[92:93]
	v_fma_f64 v[140:141], v[90:91], s[14:15], v[104:105]
	v_add_f64 v[92:93], v[122:123], -v[80:81]
	v_add_f64 v[88:89], v[138:139], v[134:135]
	v_add_f64 v[102:103], v[128:129], -v[222:223]
	v_add_f64 v[94:95], v[126:127], -v[96:97]
	v_add_f64 v[104:105], v[106:107], v[136:137]
	v_add_f64 v[96:97], v[96:97], v[126:127]
	v_add_f64 v[106:107], v[136:137], -v[106:107]
	v_add_f64 v[122:123], v[222:223], v[128:129]
	v_add_f64 v[126:127], v[134:135], -v[138:139]
	v_add_f64 v[80:81], v[245:246], v[158:159]
	v_add_f64 v[128:129], v[233:234], v[160:161]
	;; [unrolled: 1-line block ×4, first 2 shown]
	v_add_f64 v[138:139], v[150:151], -v[146:147]
	v_add_f64 v[142:143], v[152:153], -v[148:149]
	v_add_f64 v[146:147], v[48:49], v[154:155]
	v_add_f64 v[148:149], v[144:145], v[156:157]
	v_add_f64 v[48:49], v[154:155], -v[48:49]
	v_add_f64 v[144:145], v[156:157], -v[144:145]
	v_add_f64 v[98:99], v[124:125], -v[132:133]
	v_add_f64 v[100:101], v[132:133], v[124:125]
	v_add_f64 v[90:91], v[220:221], v[130:131]
	v_add_f64 v[124:125], v[130:131], -v[220:221]
	;; [unrolled: 5-line block ×3, first 2 shown]
	v_add_f64 v[156:157], v[136:137], -v[128:129]
	v_add_f64 v[80:81], v[80:81], -v[146:147]
	;; [unrolled: 1-line block ×5, first 2 shown]
	v_add_f64 v[158:159], v[48:49], v[138:139]
	v_add_f64 v[160:161], v[144:145], v[142:143]
	;; [unrolled: 1-line block ×3, first 2 shown]
	v_add_f64 v[150:151], v[48:49], -v[138:139]
	v_add_f64 v[148:149], v[148:149], v[152:153]
	v_add_f64 v[152:153], v[144:145], -v[142:143]
	v_add_f64 v[220:221], v[130:131], -v[48:49]
	;; [unrolled: 1-line block ×5, first 2 shown]
	v_add_f64 v[130:131], v[158:159], v[130:131]
	v_mul_f64 v[80:81], v[80:81], s[4:5]
	v_mul_f64 v[158:159], v[134:135], s[16:17]
	v_add_f64 v[132:133], v[160:161], v[132:133]
	v_mul_f64 v[128:129], v[128:129], s[4:5]
	v_mul_f64 v[160:161], v[136:137], s[16:17]
	v_add_f64 v[48:49], v[72:73], v[146:147]
	v_add_f64 v[72:73], v[82:83], v[148:149]
	v_mul_f64 v[82:83], v[150:151], s[18:19]
	v_fma_f64 v[134:135], v[134:135], s[16:17], v[80:81]
	v_fma_f64 v[150:151], v[154:155], s[6:7], -v[158:159]
	v_fma_f64 v[154:155], v[154:155], s[8:9], -v[80:81]
	v_fma_f64 v[136:137], v[136:137], s[16:17], v[128:129]
	v_fma_f64 v[158:159], v[156:157], s[6:7], -v[160:161]
	v_mul_f64 v[80:81], v[138:139], s[0:1]
	v_fma_f64 v[128:129], v[156:157], s[8:9], -v[128:129]
	v_mul_f64 v[156:157], v[142:143], s[0:1]
	v_mul_f64 v[152:153], v[152:153], s[18:19]
	v_fma_f64 v[146:147], v[146:147], s[20:21], v[48:49]
	v_fma_f64 v[148:149], v[148:149], s[20:21], v[72:73]
	v_fma_f64 v[138:139], v[138:139], s[0:1], -v[82:83]
	v_fma_f64 v[160:161], v[220:221], s[24:25], v[82:83]
	v_fma_f64 v[82:83], v[220:221], s[22:23], -v[80:81]
	v_add_f64 v[80:81], v[215:216], -v[140:141]
	v_fma_f64 v[156:157], v[144:145], s[22:23], -v[156:157]
	v_fma_f64 v[142:143], v[142:143], s[0:1], -v[152:153]
	v_fma_f64 v[144:145], v[144:145], s[24:25], v[152:153]
	v_add_f64 v[152:153], v[134:135], v[146:147]
	v_add_f64 v[134:135], v[150:151], v[146:147]
	;; [unrolled: 1-line block ×5, first 2 shown]
	v_fma_f64 v[156:157], v[132:133], s[14:15], v[156:157]
	v_fma_f64 v[158:159], v[130:131], s[14:15], v[82:83]
	;; [unrolled: 1-line block ×5, first 2 shown]
	v_add_f64 v[82:83], v[140:141], v[215:216]
	v_add_f64 v[148:149], v[136:137], v[148:149]
	v_fma_f64 v[160:161], v[130:131], s[14:15], v[160:161]
	v_add_f64 v[136:137], v[156:157], v[146:147]
	v_add_f64 v[128:129], v[154:155], -v[158:159]
	v_add_f64 v[138:139], v[134:135], -v[142:143]
	v_add_f64 v[130:131], v[220:221], v[150:151]
	v_add_f64 v[140:141], v[142:143], v[134:135]
	v_add_f64 v[132:133], v[150:151], -v[220:221]
	v_add_f64 v[142:143], v[146:147], -v[156:157]
	v_add_f64 v[134:135], v[158:159], v[154:155]
	v_add_f64 v[146:147], v[62:63], v[36:37]
	v_add_f64 v[150:151], v[64:65], v[38:39]
	v_add_f64 v[36:37], v[62:63], -v[36:37]
	v_add_f64 v[38:39], v[64:65], -v[38:39]
	v_add_f64 v[62:63], v[50:51], v[168:169]
	v_add_f64 v[64:65], v[60:61], v[170:171]
	v_add_f64 v[60:61], v[60:61], -v[170:171]
	v_add_f64 v[154:155], v[162:163], v[40:41]
	v_add_f64 v[156:157], v[164:165], v[42:43]
	v_add_f64 v[42:43], v[42:43], -v[164:165]
	v_add_f64 v[50:51], v[50:51], -v[168:169]
	;; [unrolled: 1-line block ×3, first 2 shown]
	v_add_f64 v[158:159], v[62:63], v[146:147]
	v_add_f64 v[162:163], v[64:65], v[150:151]
	v_add_f64 v[164:165], v[62:63], -v[146:147]
	v_add_f64 v[146:147], v[146:147], -v[154:155]
	;; [unrolled: 1-line block ×3, first 2 shown]
	v_add_f64 v[215:216], v[42:43], v[60:61]
	v_add_f64 v[168:169], v[64:65], -v[150:151]
	v_add_f64 v[150:151], v[150:151], -v[156:157]
	;; [unrolled: 1-line block ×3, first 2 shown]
	v_add_f64 v[170:171], v[40:41], v[50:51]
	v_add_f64 v[154:155], v[154:155], v[158:159]
	v_add_f64 v[158:159], v[40:41], -v[50:51]
	v_add_f64 v[156:157], v[156:157], v[162:163]
	v_add_f64 v[162:163], v[42:43], -v[60:61]
	v_add_f64 v[42:43], v[38:39], -v[42:43]
	;; [unrolled: 1-line block ×4, first 2 shown]
	v_add_f64 v[215:216], v[215:216], v[38:39]
	v_mul_f64 v[38:39], v[146:147], s[4:5]
	v_mul_f64 v[146:147], v[62:63], s[16:17]
	v_add_f64 v[40:41], v[36:37], -v[40:41]
	v_add_f64 v[170:171], v[170:171], v[36:37]
	v_add_f64 v[36:37], v[70:71], v[154:155]
	;; [unrolled: 1-line block ×3, first 2 shown]
	v_mul_f64 v[70:71], v[150:151], s[4:5]
	v_mul_f64 v[150:151], v[64:65], s[16:17]
	;; [unrolled: 1-line block ×4, first 2 shown]
	v_fma_f64 v[217:218], v[62:63], s[16:17], v[38:39]
	v_fma_f64 v[146:147], v[164:165], s[6:7], -v[146:147]
	v_fma_f64 v[164:165], v[164:165], s[8:9], -v[38:39]
	v_mul_f64 v[38:39], v[50:51], s[0:1]
	v_fma_f64 v[64:65], v[64:65], s[16:17], v[70:71]
	v_fma_f64 v[150:151], v[168:169], s[6:7], -v[150:151]
	v_fma_f64 v[70:71], v[168:169], s[8:9], -v[70:71]
	v_mul_f64 v[62:63], v[220:221], s[0:1]
	v_fma_f64 v[154:155], v[154:155], s[20:21], v[36:37]
	v_fma_f64 v[156:157], v[156:157], s[20:21], v[60:61]
	v_fma_f64 v[50:51], v[50:51], s[0:1], -v[158:159]
	v_fma_f64 v[158:159], v[40:41], s[24:25], v[158:159]
	v_fma_f64 v[40:41], v[40:41], s[22:23], -v[38:39]
	v_fma_f64 v[168:169], v[220:221], s[0:1], -v[162:163]
	v_fma_f64 v[162:163], v[42:43], s[24:25], v[162:163]
	v_fma_f64 v[42:43], v[42:43], s[22:23], -v[62:63]
	v_add_f64 v[217:218], v[217:218], v[154:155]
	v_add_f64 v[220:221], v[64:65], v[156:157]
	;; [unrolled: 1-line block ×5, first 2 shown]
	v_fma_f64 v[224:225], v[170:171], s[14:15], v[40:41]
	v_fma_f64 v[162:163], v[215:216], s[14:15], v[162:163]
	;; [unrolled: 1-line block ×3, first 2 shown]
	v_add_f64 v[38:39], v[144:145], v[152:153]
	v_add_f64 v[62:63], v[148:149], -v[160:161]
	v_add_f64 v[154:155], v[164:165], v[154:155]
	v_fma_f64 v[164:165], v[215:216], s[14:15], v[42:43]
	v_fma_f64 v[215:216], v[170:171], s[14:15], v[50:51]
	;; [unrolled: 1-line block ×3, first 2 shown]
	v_add_f64 v[50:51], v[152:153], -v[144:145]
	v_add_f64 v[64:65], v[160:161], v[148:149]
	v_add_f64 v[40:41], v[162:163], v[217:218]
	v_add_f64 v[70:71], v[156:157], -v[224:225]
	v_add_f64 v[150:151], v[146:147], -v[168:169]
	v_add_f64 v[152:153], v[168:169], v[146:147]
	v_add_f64 v[148:149], v[224:225], v[156:157]
	v_add_f64 v[156:157], v[217:218], -v[162:163]
	v_add_f64 v[158:159], v[32:33], v[200:201]
	v_add_f64 v[162:163], v[184:185], v[24:25]
	v_add_f64 v[24:25], v[184:185], -v[24:25]
	v_add_f64 v[168:169], v[28:29], v[188:189]
	v_add_f64 v[28:29], v[188:189], -v[28:29]
	;; [unrolled: 2-line block ×4, first 2 shown]
	v_add_f64 v[34:35], v[34:35], -v[202:203]
	v_add_f64 v[164:165], v[186:187], v[26:27]
	v_add_f64 v[26:27], v[186:187], -v[26:27]
	v_add_f64 v[184:185], v[30:31], v[190:191]
	;; [unrolled: 2-line block ×3, first 2 shown]
	v_add_f64 v[190:191], v[162:163], -v[158:159]
	v_add_f64 v[158:159], v[158:159], -v[168:169]
	;; [unrolled: 1-line block ×3, first 2 shown]
	v_add_f64 v[202:203], v[28:29], v[24:25]
	v_add_f64 v[188:189], v[164:165], v[160:161]
	;; [unrolled: 1-line block ×3, first 2 shown]
	v_add_f64 v[146:147], v[222:223], -v[215:216]
	v_add_f64 v[168:169], v[168:169], v[186:187]
	v_add_f64 v[186:187], v[28:29], -v[24:25]
	v_add_f64 v[28:29], v[32:33], -v[28:29]
	;; [unrolled: 1-line block ×3, first 2 shown]
	v_add_f64 v[32:33], v[202:203], v[32:33]
	v_mul_f64 v[158:159], v[158:159], s[4:5]
	v_mul_f64 v[202:203], v[162:163], s[16:17]
	v_add_f64 v[200:201], v[164:165], -v[160:161]
	v_add_f64 v[160:161], v[160:161], -v[184:185]
	;; [unrolled: 1-line block ×3, first 2 shown]
	v_add_f64 v[215:216], v[30:31], v[26:27]
	v_add_f64 v[184:185], v[184:185], v[188:189]
	v_add_f64 v[188:189], v[30:31], -v[26:27]
	v_fma_f64 v[162:163], v[162:163], s[16:17], v[158:159]
	v_fma_f64 v[202:203], v[190:191], s[6:7], -v[202:203]
	v_fma_f64 v[190:191], v[190:191], s[8:9], -v[158:159]
	ds_read_b64 v[158:159], v227
	buffer_load_dword v68, off, s[36:39], 0 offset:32 ; 4-byte Folded Reload
	buffer_load_dword v69, off, s[36:39], 0 offset:36 ; 4-byte Folded Reload
	v_add_f64 v[30:31], v[34:35], -v[30:31]
	v_add_f64 v[26:27], v[26:27], -v[34:35]
	v_add_f64 v[34:35], v[215:216], v[34:35]
	v_mul_f64 v[160:161], v[160:161], s[4:5]
	v_mul_f64 v[215:216], v[164:165], s[16:17]
	;; [unrolled: 1-line block ×3, first 2 shown]
	buffer_load_dword v226, off, s[36:39], 0 offset:20 ; 4-byte Folded Reload
	v_fma_f64 v[164:165], v[164:165], s[16:17], v[160:161]
	v_fma_f64 v[215:216], v[200:201], s[6:7], -v[215:216]
	v_fma_f64 v[160:161], v[200:201], s[8:9], -v[160:161]
	v_mul_f64 v[200:201], v[26:27], s[0:1]
	v_fma_f64 v[26:27], v[26:27], s[0:1], -v[188:189]
	v_fma_f64 v[26:27], v[34:35], s[14:15], v[26:27]
	s_waitcnt vmcnt(1)
	v_add_f64 v[217:218], v[68:69], v[168:169]
	s_waitcnt lgkmcnt(0)
	v_add_f64 v[68:69], v[158:159], v[184:185]
	v_mul_f64 v[158:159], v[186:187], s[18:19]
	v_fma_f64 v[186:187], v[30:31], s[24:25], v[188:189]
	v_mul_f64 v[188:189], v[24:25], s[0:1]
	v_fma_f64 v[30:31], v[30:31], s[22:23], -v[200:201]
	v_fma_f64 v[168:169], v[168:169], s[20:21], v[217:218]
	v_fma_f64 v[184:185], v[184:185], s[20:21], v[68:69]
	v_fma_f64 v[24:25], v[24:25], s[0:1], -v[158:159]
	v_fma_f64 v[200:201], v[28:29], s[24:25], v[158:159]
	v_fma_f64 v[28:29], v[28:29], s[22:23], -v[188:189]
	v_fma_f64 v[30:31], v[34:35], s[14:15], v[30:31]
	v_add_f64 v[158:159], v[220:221], -v[170:171]
	v_fma_f64 v[34:35], v[34:35], s[14:15], v[186:187]
	v_add_f64 v[190:191], v[190:191], v[168:169]
	v_add_f64 v[215:216], v[215:216], v[184:185]
	;; [unrolled: 1-line block ×3, first 2 shown]
	v_fma_f64 v[24:25], v[32:33], s[14:15], v[24:25]
	v_fma_f64 v[28:29], v[32:33], s[14:15], v[28:29]
	v_add_f64 v[188:189], v[162:163], v[168:169]
	v_add_f64 v[202:203], v[202:203], v[168:169]
	;; [unrolled: 1-line block ×5, first 2 shown]
	v_fma_f64 v[32:33], v[32:33], s[14:15], v[200:201]
	v_add_f64 v[164:165], v[24:25], v[215:216]
	v_add_f64 v[162:163], v[222:223], -v[28:29]
	v_add_f64 v[168:169], v[215:216], -v[24:25]
	;; [unrolled: 1-line block ×3, first 2 shown]
	v_add_f64 v[170:171], v[28:29], v[222:223]
	v_add_f64 v[28:29], v[16:17], v[192:193]
	;; [unrolled: 1-line block ×4, first 2 shown]
	v_add_f64 v[16:17], v[16:17], -v[192:193]
	v_add_f64 v[192:193], v[166:167], v[182:183]
	v_add_f64 v[20:21], v[20:21], -v[180:181]
	v_add_f64 v[166:167], v[166:167], -v[182:183]
	v_add_f64 v[180:181], v[172:173], v[176:177]
	v_add_f64 v[182:183], v[174:175], v[178:179]
	v_add_f64 v[172:173], v[176:177], -v[172:173]
	v_add_f64 v[174:175], v[178:179], -v[174:175]
	v_add_f64 v[176:177], v[190:191], v[28:29]
	v_add_f64 v[18:19], v[18:19], -v[194:195]
	v_add_f64 v[178:179], v[192:193], v[30:31]
	v_add_f64 v[194:195], v[190:191], -v[28:29]
	v_add_f64 v[28:29], v[28:29], -v[180:181]
	;; [unrolled: 1-line block ×3, first 2 shown]
	v_add_f64 v[215:216], v[172:173], v[20:21]
	v_add_f64 v[200:201], v[202:203], -v[26:27]
	v_add_f64 v[176:177], v[180:181], v[176:177]
	v_add_f64 v[180:181], v[174:175], v[166:167]
	;; [unrolled: 1-line block ×3, first 2 shown]
	v_add_f64 v[202:203], v[192:193], -v[30:31]
	v_add_f64 v[30:31], v[30:31], -v[182:183]
	v_add_f64 v[192:193], v[182:183], -v[192:193]
	v_add_f64 v[178:179], v[182:183], v[178:179]
	v_add_f64 v[182:183], v[172:173], -v[20:21]
	v_add_f64 v[172:173], v[16:17], -v[172:173]
	v_add_f64 v[20:21], v[20:21], -v[16:17]
	v_add_f64 v[16:17], v[215:216], v[16:17]
	;; [unrolled: 4-line block ×3, first 2 shown]
	v_mul_f64 v[28:29], v[28:29], s[4:5]
	v_mul_f64 v[180:181], v[190:191], s[16:17]
	;; [unrolled: 1-line block ×5, first 2 shown]
	v_add_f64 v[66:67], v[66:67], v[176:177]
	v_add_f64 v[220:221], v[184:185], -v[32:33]
	v_add_f64 v[184:185], v[32:33], v[184:185]
	v_fma_f64 v[190:191], v[190:191], s[16:17], v[28:29]
	v_fma_f64 v[180:181], v[194:195], s[6:7], -v[180:181]
	v_fma_f64 v[28:29], v[194:195], s[8:9], -v[28:29]
	v_mul_f64 v[194:195], v[192:193], s[16:17]
	v_fma_f64 v[192:193], v[192:193], s[16:17], v[30:31]
	v_fma_f64 v[30:31], v[202:203], s[8:9], -v[30:31]
	v_fma_f64 v[176:177], v[176:177], s[20:21], v[66:67]
	v_fma_f64 v[194:195], v[202:203], s[6:7], -v[194:195]
	v_mul_f64 v[202:203], v[20:21], s[0:1]
	v_fma_f64 v[20:21], v[20:21], s[0:1], -v[182:183]
	v_fma_f64 v[182:183], v[172:173], s[24:25], v[182:183]
	v_add_f64 v[180:181], v[180:181], v[176:177]
	v_add_f64 v[28:29], v[28:29], v[176:177]
	v_add_f64 v[190:191], v[190:191], v[176:177]
	v_add_f64 v[176:177], v[34:35], v[188:189]
	v_fma_f64 v[172:173], v[172:173], s[22:23], -v[202:203]
	v_mul_f64 v[202:203], v[166:167], s[0:1]
	v_fma_f64 v[166:167], v[166:167], s[0:1], -v[215:216]
	v_fma_f64 v[215:216], v[174:175], s[24:25], v[215:216]
	v_fma_f64 v[182:183], v[16:17], s[14:15], v[182:183]
	v_fma_f64 v[174:175], v[174:175], s[22:23], -v[202:203]
	s_waitcnt vmcnt(0)
	ds_read_b64 v[202:203], v226
	s_waitcnt lgkmcnt(0)
	; wave barrier
	s_waitcnt lgkmcnt(0)
	v_add_f64 v[202:203], v[202:203], v[178:179]
	v_fma_f64 v[174:175], v[18:19], s[14:15], v[174:175]
	v_fma_f64 v[178:179], v[178:179], s[20:21], v[202:203]
	v_add_f64 v[192:193], v[192:193], v[178:179]
	v_add_f64 v[194:195], v[194:195], v[178:179]
	;; [unrolled: 1-line block ×3, first 2 shown]
	v_fma_f64 v[178:179], v[18:19], s[14:15], v[215:216]
	v_fma_f64 v[18:19], v[18:19], s[14:15], v[166:167]
	;; [unrolled: 1-line block ×4, first 2 shown]
	v_add_f64 v[20:21], v[188:189], -v[34:35]
	v_add_f64 v[34:35], v[174:175], v[28:29]
	v_add_f64 v[215:216], v[192:193], -v[182:183]
	v_add_f64 v[182:183], v[182:183], v[192:193]
	v_add_f64 v[32:33], v[178:179], v[190:191]
	v_add_f64 v[172:173], v[180:181], -v[18:19]
	v_add_f64 v[18:19], v[18:19], v[180:181]
	v_add_f64 v[180:181], v[16:17], v[194:195]
	v_add_f64 v[194:195], v[194:195], -v[16:17]
	v_add_f64 v[222:223], v[30:31], -v[166:167]
	;; [unrolled: 1-line block ×3, first 2 shown]
	v_add_f64 v[166:167], v[166:167], v[30:31]
	buffer_load_dword v30, off, s[36:39], 0 offset:4 ; 4-byte Folded Reload
	buffer_load_dword v174, off, s[36:39], 0 offset:12 ; 4-byte Folded Reload
	v_mov_b32_e32 v31, 3
	v_add_f64 v[28:29], v[190:191], -v[178:179]
	s_waitcnt vmcnt(1)
	v_mul_u32_u24_e32 v30, 0x188, v30
	s_waitcnt vmcnt(0)
	v_lshlrev_b32_sdwa v174, v31, v174 dst_sel:DWORD dst_unused:UNUSED_PAD src0_sel:DWORD src1_sel:BYTE_0
	v_add3_u32 v224, 0, v30, v174
	ds_write2_b64 v224, v[0:1], v[2:3] offset1:7
	ds_write2_b64 v224, v[4:5], v[6:7] offset0:14 offset1:21
	ds_write2_b64 v224, v[8:9], v[10:11] offset0:28 offset1:35
	ds_write_b64 v224, v[12:13] offset:336
	buffer_load_dword v0, off, s[36:39], 0 offset:24 ; 4-byte Folded Reload
	buffer_load_dword v1, off, s[36:39], 0 offset:28 ; 4-byte Folded Reload
	s_waitcnt vmcnt(1)
	v_mul_u32_u24_e32 v0, 0x188, v0
	s_waitcnt vmcnt(0)
	v_lshlrev_b32_sdwa v1, v31, v1 dst_sel:DWORD dst_unused:UNUSED_PAD src0_sel:DWORD src1_sel:BYTE_0
	v_add3_u32 v225, 0, v0, v1
	v_mul_u32_u24_e32 v0, 0x188, v235
	v_lshlrev_b32_sdwa v1, v31, v236 dst_sel:DWORD dst_unused:UNUSED_PAD src0_sel:DWORD src1_sel:BYTE_0
	ds_write2_b64 v225, v[14:15], v[86:87] offset1:7
	ds_write2_b64 v225, v[22:23], v[76:77] offset0:14 offset1:21
	ds_write2_b64 v225, v[78:79], v[120:121] offset0:28 offset1:35
	ds_write_b64 v225, v[92:93] offset:336
	v_add3_u32 v120, 0, v0, v1
	v_mul_u32_u24_e32 v0, 0x188, v237
	v_lshlrev_b32_sdwa v1, v31, v238 dst_sel:DWORD dst_unused:UNUSED_PAD src0_sel:DWORD src1_sel:BYTE_0
	v_add3_u32 v121, 0, v0, v1
	v_mul_u32_u24_e32 v0, 0x188, v239
	v_lshlrev_b32_sdwa v1, v31, v240 dst_sel:DWORD dst_unused:UNUSED_PAD src0_sel:DWORD src1_sel:BYTE_0
	ds_write2_b64 v120, v[84:85], v[88:89] offset1:7
	ds_write2_b64 v120, v[90:91], v[94:95] offset0:14 offset1:21
	ds_write2_b64 v120, v[96:97], v[124:125] offset0:28 offset1:35
	ds_write_b64 v120, v[126:127] offset:336
	ds_write2_b64 v121, v[48:49], v[38:39] offset1:7
	ds_write2_b64 v121, v[136:137], v[138:139] offset0:14 offset1:21
	ds_write2_b64 v121, v[140:141], v[142:143] offset0:28 offset1:35
	ds_write_b64 v121, v[50:51] offset:336
	v_add3_u32 v140, 0, v0, v1
	v_mul_u32_u24_e32 v0, 0x188, v241
	v_lshlrev_b32_e32 v1, 3, v242
	v_add3_u32 v141, 0, v0, v1
	v_mul_u32_u24_e32 v0, 0x188, v243
	v_lshlrev_b32_e32 v1, 3, v244
	v_add3_u32 v142, 0, v0, v1
	ds_write2_b64 v140, v[36:37], v[40:41] offset1:7
	ds_write2_b64 v140, v[42:43], v[150:151] offset0:14 offset1:21
	ds_write2_b64 v140, v[152:153], v[154:155] offset0:28 offset1:35
	ds_write_b64 v140, v[156:157] offset:336
	ds_write2_b64 v141, v[217:218], v[176:177] offset1:7
	ds_write2_b64 v141, v[186:187], v[200:201] offset0:14 offset1:21
	ds_write2_b64 v141, v[26:27], v[24:25] offset0:28 offset1:35
	ds_write_b64 v141, v[20:21] offset:336
	;; [unrolled: 4-line block ×3, first 2 shown]
	s_waitcnt lgkmcnt(0)
	; wave barrier
	s_waitcnt lgkmcnt(0)
	ds_read2_b64 v[124:127], v206 offset0:87 offset1:136
	ds_read2_b64 v[28:31], v228 offset0:125 offset1:174
	;; [unrolled: 1-line block ×12, first 2 shown]
	ds_read_b64 v[96:97], v210
	ds_read_b64 v[94:95], v249
	v_add_u32_e32 v255, 0x2c00, v210
	ds_read_b64 v[92:93], v231
	ds_read_b64 v[90:91], v250
	ds_read2_b64 v[186:189], v211 offset0:65 offset1:114
	ds_read2_b64 v[190:193], v255 offset0:111 offset1:160
	;; [unrolled: 1-line block ×9, first 2 shown]
	ds_read_b64 v[88:89], v232
	ds_read_b64 v[66:67], v227
	s_waitcnt lgkmcnt(0)
	buffer_store_dword v66, off, s[36:39], 0 offset:12 ; 4-byte Folded Spill
	s_nop 0
	buffer_store_dword v67, off, s[36:39], 0 offset:16 ; 4-byte Folded Spill
	ds_read_b64 v[66:67], v226
	s_waitcnt lgkmcnt(0)
	buffer_store_dword v66, off, s[36:39], 0 offset:4 ; 4-byte Folded Spill
	s_nop 0
	buffer_store_dword v67, off, s[36:39], 0 offset:8 ; 4-byte Folded Spill
	s_waitcnt lgkmcnt(0)
	; wave barrier
	ds_write2_b64 v224, v[44:45], v[108:109] offset1:7
	ds_write2_b64 v224, v[46:47], v[52:53] offset0:14 offset1:21
	ds_write2_b64 v224, v[54:55], v[56:57] offset0:28 offset1:35
	ds_write_b64 v224, v[110:111] offset:336
	ds_write2_b64 v225, v[58:59], v[98:99] offset1:7
	ds_write2_b64 v225, v[112:113], v[114:115] offset0:14 offset1:21
	ds_write2_b64 v225, v[116:117], v[118:119] offset0:28 offset1:35
	ds_write_b64 v225, v[100:101] offset:336
	;; [unrolled: 4-line block ×7, first 2 shown]
	v_mul_u32_u24_e32 v44, 6, v204
	v_lshlrev_b32_e32 v184, 4, v44
	s_waitcnt lgkmcnt(0)
	; wave barrier
	s_waitcnt lgkmcnt(0)
	global_load_dwordx4 v[60:63], v184, s[12:13] offset:672
	global_load_dwordx4 v[64:67], v184, s[12:13] offset:704
	;; [unrolled: 1-line block ×3, first 2 shown]
	v_mul_lo_u16_sdwa v44, v205, s28 dst_sel:DWORD dst_unused:UNUSED_PAD src0_sel:BYTE_0 src1_sel:DWORD
	v_sub_u16_sdwa v45, v205, v44 dst_sel:DWORD dst_unused:UNUSED_PAD src0_sel:DWORD src1_sel:BYTE_1
	v_lshrrev_b16_e32 v45, 1, v45
	v_and_b32_e32 v45, 0x7f, v45
	v_add_u16_sdwa v44, v45, v44 dst_sel:DWORD dst_unused:UNUSED_PAD src0_sel:DWORD src1_sel:BYTE_1
	v_lshrrev_b16_e32 v44, 5, v44
	v_mul_lo_u16_e32 v44, 49, v44
	v_sub_u16_e32 v44, v205, v44
	v_and_b32_e32 v44, 0xff, v44
	buffer_store_dword v44, off, s[36:39], 0 offset:24 ; 4-byte Folded Spill
	v_mul_u32_u24_e32 v44, 6, v44
	buffer_store_dword v205, off, s[36:39], 0 offset:32 ; 4-byte Folded Spill
	v_lshlrev_b32_e32 v170, 4, v44
	global_load_dwordx4 v[72:75], v170, s[12:13] offset:704
	global_load_dwordx4 v[80:83], v170, s[12:13] offset:672
	v_mul_lo_u16_sdwa v44, v207, s28 dst_sel:DWORD dst_unused:UNUSED_PAD src0_sel:BYTE_0 src1_sel:DWORD
	v_sub_u16_sdwa v45, v207, v44 dst_sel:DWORD dst_unused:UNUSED_PAD src0_sel:DWORD src1_sel:BYTE_1
	v_lshrrev_b16_e32 v45, 1, v45
	v_and_b32_e32 v45, 0x7f, v45
	v_add_u16_sdwa v44, v45, v44 dst_sel:DWORD dst_unused:UNUSED_PAD src0_sel:DWORD src1_sel:BYTE_1
	v_lshrrev_b16_e32 v44, 5, v44
	v_mul_lo_u16_e32 v44, 49, v44
	v_sub_u16_e32 v44, v207, v44
	v_and_b32_e32 v44, 0xff, v44
	buffer_store_dword v44, off, s[36:39], 0 offset:28 ; 4-byte Folded Spill
	v_mul_u32_u24_e32 v44, 6, v44
	v_lshlrev_b32_e32 v110, 4, v44
	global_load_dwordx4 v[98:101], v110, s[12:13] offset:672
	global_load_dwordx4 v[102:105], v110, s[12:13] offset:704
	;; [unrolled: 1-line block ×9, first 2 shown]
	v_mul_lo_u16_sdwa v134, v208, s28 dst_sel:DWORD dst_unused:UNUSED_PAD src0_sel:BYTE_0 src1_sel:DWORD
	v_sub_u16_sdwa v135, v208, v134 dst_sel:DWORD dst_unused:UNUSED_PAD src0_sel:DWORD src1_sel:BYTE_1
	v_lshrrev_b16_e32 v135, 1, v135
	v_and_b32_e32 v135, 0x7f, v135
	v_add_u16_sdwa v134, v135, v134 dst_sel:DWORD dst_unused:UNUSED_PAD src0_sel:DWORD src1_sel:BYTE_1
	v_lshrrev_b16_e32 v134, 5, v134
	v_mul_lo_u16_e32 v134, 49, v134
	v_sub_u16_e32 v134, v208, v134
	v_and_b32_e32 v195, 0xff, v134
	v_mul_u32_u24_e32 v134, 6, v195
	v_lshlrev_b32_e32 v185, 4, v134
	v_mov_b32_e32 v87, v227
	v_mov_b32_e32 v84, v226
	ds_read2_b64 v[106:109], v206 offset0:87 offset1:136
	global_load_dwordx4 v[224:227], v110, s[12:13] offset:752
	ds_read2_b64 v[110:113], v212 offset0:5 offset1:54
	ds_read2_b64 v[128:131], v230 offset0:179 offset1:228
	;; [unrolled: 1-line block ×3, first 2 shown]
	global_load_dwordx4 v[235:238], v185, s[12:13] offset:688
	global_load_dwordx4 v[243:246], v185, s[12:13] offset:720
	v_mov_b32_e32 v86, v249
	v_mov_b32_e32 v85, v250
	ds_read2_b64 v[239:242], v212 offset0:103 offset1:152
	global_load_dwordx4 v[247:250], v185, s[12:13] offset:672
	global_load_dwordx4 v[251:254], v185, s[12:13] offset:752
	s_movk_i32 s28, 0x4e5f
	global_load_dwordx4 v[215:218], v185, s[12:13] offset:704
	v_add_u32_e32 v205, 0x2800, v210
	s_waitcnt vmcnt(22)
	v_mul_f64 v[132:133], v[124:125], v[62:63]
	s_waitcnt lgkmcnt(4)
	v_mul_f64 v[118:119], v[106:107], v[62:63]
	s_waitcnt vmcnt(21) lgkmcnt(3)
	v_mul_f64 v[134:135], v[110:111], v[66:67]
	v_mul_f64 v[140:141], v[136:137], v[66:67]
	v_fma_f64 v[164:165], v[106:107], v[60:61], v[132:133]
	v_mul_f64 v[106:107], v[108:109], v[62:63]
	v_mul_f64 v[62:63], v[126:127], v[62:63]
	v_fma_f64 v[162:163], v[124:125], v[60:61], -v[118:119]
	v_mul_f64 v[118:119], v[112:113], v[66:67]
	v_fma_f64 v[158:159], v[136:137], v[64:65], -v[134:135]
	v_fma_f64 v[160:161], v[110:111], v[64:65], v[140:141]
	s_waitcnt vmcnt(20) lgkmcnt(2)
	v_mul_f64 v[110:111], v[128:129], v[70:71]
	v_mul_f64 v[124:125], v[150:151], v[70:71]
	v_fma_f64 v[144:145], v[126:127], v[60:61], -v[106:107]
	v_fma_f64 v[146:147], v[108:109], v[60:61], v[62:63]
	v_mul_u32_u24_sdwa v62, v209, s28 dst_sel:DWORD dst_unused:UNUSED_PAD src0_sel:WORD_0 src1_sel:DWORD
	v_mul_f64 v[60:61], v[138:139], v[66:67]
	v_sub_u16_sdwa v63, v209, v62 dst_sel:DWORD dst_unused:UNUSED_PAD src0_sel:DWORD src1_sel:WORD_1
	v_lshrrev_b16_e32 v63, 1, v63
	v_add_u16_sdwa v62, v63, v62 dst_sel:DWORD dst_unused:UNUSED_PAD src0_sel:DWORD src1_sel:WORD_1
	v_lshrrev_b16_e32 v62, 5, v62
	v_mul_lo_u16_e32 v62, 49, v62
	v_sub_u16_e32 v194, v209, v62
	v_mul_u32_u24_e32 v62, 6, v194
	v_lshlrev_b32_e32 v171, 4, v62
	v_fma_f64 v[142:143], v[138:139], v[64:65], -v[118:119]
	global_load_dwordx4 v[180:183], v171, s[12:13] offset:672
	v_mul_f64 v[66:67], v[130:131], v[70:71]
	v_fma_f64 v[148:149], v[112:113], v[64:65], v[60:61]
	s_waitcnt vmcnt(17) lgkmcnt(1)
	v_mul_f64 v[64:65], v[231:232], v[82:83]
	v_mul_f64 v[70:71], v[152:153], v[70:71]
	v_fma_f64 v[166:167], v[150:151], v[68:69], -v[110:111]
	v_fma_f64 v[168:169], v[128:129], v[68:69], v[124:125]
	v_mul_f64 v[82:83], v[154:155], v[82:83]
	global_load_dwordx4 v[106:109], v171, s[12:13] offset:704
	v_fma_f64 v[150:151], v[152:153], v[68:69], -v[66:67]
	s_waitcnt lgkmcnt(0)
	v_mul_f64 v[66:67], v[239:240], v[74:75]
	v_fma_f64 v[132:133], v[154:155], v[80:81], -v[64:65]
	v_mul_f64 v[64:65], v[172:173], v[74:75]
	v_fma_f64 v[152:153], v[130:131], v[68:69], v[70:71]
	s_waitcnt vmcnt(16)
	v_mul_f64 v[70:71], v[156:157], v[100:101]
	v_mul_f64 v[68:69], v[233:234], v[100:101]
	s_waitcnt vmcnt(15)
	v_mul_f64 v[74:75], v[241:242], v[104:105]
	ds_read2_b64 v[60:63], v219 offset0:21 offset1:70
	v_fma_f64 v[130:131], v[172:173], v[72:73], -v[66:67]
	v_fma_f64 v[136:137], v[231:232], v[80:81], v[82:83]
	global_load_dwordx4 v[80:83], v171, s[12:13] offset:736
	v_fma_f64 v[134:135], v[239:240], v[72:73], v[64:65]
	v_mul_f64 v[72:73], v[174:175], v[104:105]
	v_fma_f64 v[112:113], v[233:234], v[98:99], v[70:71]
	s_waitcnt vmcnt(15)
	v_mul_f64 v[70:71], v[176:177], v[116:117]
	v_fma_f64 v[110:111], v[156:157], v[98:99], -v[68:69]
	ds_read2_b64 v[64:67], v211 offset0:65 offset1:114
	s_waitcnt lgkmcnt(1)
	v_mul_f64 v[68:69], v[60:61], v[116:117]
	v_fma_f64 v[231:232], v[174:175], v[102:103], -v[74:75]
	s_waitcnt vmcnt(11)
	v_mul_f64 v[126:127], v[190:191], v[202:203]
	v_fma_f64 v[233:234], v[241:242], v[102:103], v[72:73]
	s_waitcnt vmcnt(9)
	v_mul_f64 v[102:103], v[62:63], v[222:223]
	v_fma_f64 v[140:141], v[60:61], v[114:115], v[70:71]
	s_waitcnt lgkmcnt(0)
	v_mul_f64 v[60:61], v[64:65], v[122:123]
	v_mul_f64 v[122:123], v[186:187], v[122:123]
	v_fma_f64 v[138:139], v[176:177], v[114:115], -v[68:69]
	s_waitcnt vmcnt(7)
	v_mul_f64 v[124:125], v[66:67], v[237:238]
	ds_read2_b64 v[154:157], v213 offset0:157 offset1:206
	global_load_dwordx4 v[98:101], v185, s[12:13] offset:736
	v_fma_f64 v[114:115], v[178:179], v[220:221], -v[102:103]
	ds_read2_b64 v[102:105], v255 offset0:111 offset1:160
	v_fma_f64 v[118:119], v[186:187], v[120:121], -v[60:61]
	v_fma_f64 v[120:121], v[64:65], v[120:121], v[122:123]
	v_mul_u32_u24_sdwa v72, v214, s28 dst_sel:DWORD dst_unused:UNUSED_PAD src0_sel:WORD_0 src1_sel:DWORD
	v_fma_f64 v[186:187], v[188:189], v[235:236], -v[124:125]
	s_waitcnt lgkmcnt(0)
	v_mul_f64 v[60:61], v[102:103], v[202:203]
	v_fma_f64 v[124:125], v[102:103], v[200:201], v[126:127]
	v_mul_f64 v[126:127], v[154:155], v[226:227]
	v_sub_u16_sdwa v73, v214, v72 dst_sel:DWORD dst_unused:UNUSED_PAD src0_sel:DWORD src1_sel:WORD_1
	v_mul_f64 v[116:117], v[178:179], v[222:223]
	v_lshrrev_b16_e32 v73, 1, v73
	v_add_u16_sdwa v72, v73, v72 dst_sel:DWORD dst_unused:UNUSED_PAD src0_sel:DWORD src1_sel:WORD_1
	v_lshrrev_b16_e32 v72, 5, v72
	v_fma_f64 v[122:123], v[190:191], v[200:201], -v[60:61]
	s_waitcnt vmcnt(5)
	v_mul_f64 v[190:191], v[156:157], v[253:254]
	v_mul_f64 v[200:201], v[78:79], v[253:254]
	v_mul_lo_u16_e32 v72, 49, v72
	v_mul_f64 v[177:178], v[76:77], v[226:227]
	v_fma_f64 v[126:127], v[76:77], v[224:225], -v[126:127]
	v_fma_f64 v[116:117], v[62:63], v[220:221], v[116:117]
	v_mul_f64 v[62:63], v[188:189], v[237:238]
	global_load_dwordx4 v[68:71], v171, s[12:13] offset:688
	v_fma_f64 v[76:77], v[78:79], v[251:252], -v[190:191]
	v_fma_f64 v[78:79], v[156:157], v[251:252], v[200:201]
	global_load_dwordx4 v[200:203], v184, s[12:13] offset:752
	v_sub_u16_e32 v185, v214, v72
	v_mul_u32_u24_e32 v72, 6, v185
	v_lshlrev_b32_e32 v172, 4, v72
	global_load_dwordx4 v[72:75], v172, s[12:13] offset:672
	v_fma_f64 v[188:189], v[66:67], v[235:236], v[62:63]
	global_load_dwordx4 v[64:67], v172, s[12:13] offset:688
	v_mul_f64 v[62:63], v[192:193], v[245:246]
	v_mul_f64 v[128:129], v[104:105], v[245:246]
	ds_read2_b64 v[173:176], v228 offset0:27 offset1:76
	v_mul_f64 v[239:240], v[40:41], v[54:55]
	v_add_u32_e32 v252, 0x4400, v210
	v_lshl_add_u32 v251, v208, 3, 0
	v_mov_b32_e32 v253, v229
	v_mov_b32_e32 v254, v87
	v_fma_f64 v[104:105], v[104:105], v[243:244], v[62:63]
	global_load_dwordx4 v[60:63], v170, s[12:13] offset:720
	v_fma_f64 v[102:103], v[192:193], v[243:244], -v[128:129]
	v_fma_f64 v[128:129], v[154:155], v[224:225], v[177:178]
	s_waitcnt lgkmcnt(0)
	v_mul_f64 v[154:155], v[173:174], v[249:250]
	v_mul_f64 v[177:178], v[48:49], v[249:250]
	s_waitcnt vmcnt(8)
	v_mul_f64 v[220:221], v[175:176], v[182:183]
	v_mul_f64 v[182:183], v[50:51], v[182:183]
	ds_read2_b64 v[190:193], v229 offset0:95 offset1:144
	v_add_u32_e32 v250, 0x3c00, v210
	v_mov_b32_e32 v249, v85
	v_mov_b32_e32 v229, v211
	v_fma_f64 v[154:155], v[48:49], v[247:248], -v[154:155]
	s_waitcnt lgkmcnt(0)
	v_mul_f64 v[224:225], v[190:191], v[54:55]
	v_fma_f64 v[156:157], v[173:174], v[247:248], v[177:178]
	v_mul_f64 v[173:174], v[192:193], v[58:59]
	v_fma_f64 v[48:49], v[50:51], v[180:181], -v[220:221]
	v_mul_f64 v[58:59], v[42:43], v[58:59]
	v_fma_f64 v[50:51], v[175:176], v[180:181], v[182:183]
	global_load_dwordx4 v[180:183], v170, s[12:13] offset:752
	ds_read2_b64 v[220:223], v212 offset0:201 offset1:250
	v_fma_f64 v[235:236], v[40:41], v[52:53], -v[224:225]
	global_load_dwordx4 v[224:227], v172, s[12:13] offset:704
	v_fma_f64 v[176:177], v[42:43], v[56:57], -v[173:174]
	v_mov_b32_e32 v248, v213
	s_waitcnt lgkmcnt(0)
	v_mul_f64 v[237:238], v[220:221], v[217:218]
	s_waitcnt vmcnt(9)
	v_mul_f64 v[173:174], v[222:223], v[108:109]
	v_fma_f64 v[178:179], v[192:193], v[56:57], v[58:59]
	v_mul_f64 v[56:57], v[38:39], v[108:109]
	v_mul_f64 v[217:218], v[36:37], v[217:218]
	v_mov_b32_e32 v213, v219
	v_mov_b32_e32 v247, v86
	s_movk_i32 s28, 0x1000
	v_fma_f64 v[40:41], v[36:37], v[215:216], -v[237:238]
	v_fma_f64 v[36:37], v[38:39], v[106:107], -v[173:174]
	v_fma_f64 v[237:238], v[190:191], v[52:53], v[239:240]
	v_fma_f64 v[38:39], v[222:223], v[106:107], v[56:57]
	global_load_dwordx4 v[106:109], v171, s[12:13] offset:720
	v_fma_f64 v[42:43], v[220:221], v[215:216], v[217:218]
	ds_read2_b64 v[215:218], v219 offset0:119 offset1:168
	ds_read2_b64 v[190:193], v228 offset0:125 offset1:174
	global_load_dwordx4 v[220:223], v172, s[12:13] offset:736
	buffer_load_dword v219, off, s[36:39], 0 ; 4-byte Folded Reload
	s_waitcnt vmcnt(10) lgkmcnt(1)
	v_mul_f64 v[58:59], v[215:216], v[100:101]
	v_mul_f64 v[100:101], v[32:33], v[100:101]
	;; [unrolled: 1-line block ×4, first 2 shown]
	v_fma_f64 v[56:57], v[32:33], v[98:99], -v[58:59]
	v_fma_f64 v[58:59], v[215:216], v[98:99], v[100:101]
	global_load_dwordx4 v[98:101], v171, s[12:13] offset:752
	s_waitcnt lgkmcnt(0)
	v_mul_f64 v[170:171], v[192:193], v[54:55]
	v_mul_f64 v[54:55], v[30:31], v[54:55]
	v_fma_f64 v[32:33], v[34:35], v[80:81], -v[173:174]
	v_fma_f64 v[34:35], v[217:218], v[80:81], v[82:83]
	ds_read2_b64 v[80:83], v211 offset0:163 offset1:212
	global_load_dwordx4 v[215:218], v172, s[12:13] offset:720
	v_mov_b32_e32 v211, v84
	v_fma_f64 v[239:240], v[30:31], v[52:53], -v[170:171]
	v_fma_f64 v[192:193], v[192:193], v[52:53], v[54:55]
	s_waitcnt vmcnt(11) lgkmcnt(0)
	v_mul_f64 v[52:53], v[80:81], v[70:71]
	v_mul_f64 v[54:55], v[24:25], v[70:71]
	s_waitcnt vmcnt(9)
	v_mul_f64 v[173:174], v[190:191], v[74:75]
	v_mul_f64 v[74:75], v[28:29], v[74:75]
	v_fma_f64 v[52:53], v[24:25], v[68:69], -v[52:53]
	v_fma_f64 v[54:55], v[80:81], v[68:69], v[54:55]
	ds_read2_b64 v[68:71], v205 offset0:141 offset1:190
	v_mul_f64 v[80:81], v[20:21], v[46:47]
	v_fma_f64 v[28:29], v[28:29], v[72:73], -v[173:174]
	v_fma_f64 v[30:31], v[190:191], v[72:73], v[74:75]
	s_waitcnt vmcnt(8)
	v_mul_f64 v[72:73], v[82:83], v[66:67]
	v_mul_f64 v[66:67], v[26:27], v[66:67]
	s_waitcnt vmcnt(7) lgkmcnt(0)
	v_mul_f64 v[74:75], v[70:71], v[62:63]
	v_fma_f64 v[24:25], v[26:27], v[64:65], -v[72:73]
	v_fma_f64 v[26:27], v[82:83], v[64:65], v[66:67]
	v_mul_f64 v[66:67], v[22:23], v[62:63]
	v_mul_f64 v[72:73], v[68:69], v[46:47]
	ds_read2_b64 v[62:65], v205 offset0:43 offset1:92
	v_fma_f64 v[190:191], v[22:23], v[60:61], -v[74:75]
	v_fma_f64 v[68:69], v[68:69], v[44:45], v[80:81]
	v_mul_f64 v[80:81], v[6:7], v[202:203]
	v_fma_f64 v[241:242], v[70:71], v[60:61], v[66:67]
	s_waitcnt lgkmcnt(0)
	v_mul_f64 v[60:61], v[64:65], v[46:47]
	v_fma_f64 v[72:73], v[20:21], v[44:45], -v[72:73]
	ds_read2_b64 v[20:23], v248 offset0:59 offset1:108
	v_mul_f64 v[46:47], v[14:15], v[46:47]
	s_waitcnt vmcnt(6) lgkmcnt(0)
	v_mul_f64 v[70:71], v[22:23], v[182:183]
	v_fma_f64 v[60:61], v[14:15], v[44:45], -v[60:61]
	v_mul_f64 v[14:15], v[18:19], v[182:183]
	v_mul_f64 v[66:67], v[20:21], v[202:203]
	v_fma_f64 v[64:65], v[64:65], v[44:45], v[46:47]
	v_mul_f64 v[44:45], v[16:17], v[202:203]
	s_waitcnt vmcnt(5)
	v_mul_f64 v[46:47], v[62:63], v[226:227]
	v_fma_f64 v[182:183], v[18:19], v[180:181], -v[70:71]
	v_fma_f64 v[180:181], v[22:23], v[180:181], v[14:15]
	v_mul_f64 v[14:15], v[12:13], v[226:227]
	v_fma_f64 v[74:75], v[16:17], v[200:201], -v[66:67]
	ds_read2_b64 v[16:19], v250 offset0:89 offset1:138
	v_fma_f64 v[70:71], v[20:21], v[200:201], v[44:45]
	ds_read2_b64 v[20:23], v230 offset0:81 offset1:130
	v_fma_f64 v[12:13], v[12:13], v[224:225], -v[46:47]
	ds_read2_b64 v[44:47], v252 offset0:127 offset1:176
	s_waitcnt lgkmcnt(2)
	v_mul_f64 v[66:67], v[18:19], v[202:203]
	v_fma_f64 v[14:15], v[62:63], v[224:225], v[14:15]
	s_waitcnt vmcnt(4) lgkmcnt(1)
	v_mul_f64 v[62:63], v[20:21], v[108:109]
	v_mul_f64 v[108:109], v[8:9], v[108:109]
	v_fma_f64 v[80:81], v[18:19], v[200:201], v[80:81]
	v_fma_f64 v[66:67], v[6:7], v[200:201], -v[66:67]
	v_fma_f64 v[82:83], v[8:9], v[106:107], -v[62:63]
	global_load_dwordx4 v[6:9], v172, s[12:13] offset:752
	s_waitcnt vmcnt(2) lgkmcnt(0)
	v_mul_f64 v[18:19], v[44:45], v[100:101]
	v_mul_f64 v[100:101], v[0:1], v[100:101]
	v_fma_f64 v[170:171], v[20:21], v[106:107], v[108:109]
	ds_read_b64 v[62:63], v210
	s_waitcnt vmcnt(1)
	v_mul_f64 v[20:21], v[22:23], v[217:218]
	v_fma_f64 v[172:173], v[0:1], v[98:99], -v[18:19]
	v_fma_f64 v[174:175], v[44:45], v[98:99], v[100:101]
	ds_read_b64 v[98:99], v86
	v_mul_f64 v[0:1], v[10:11], v[217:218]
	v_mul_f64 v[44:45], v[4:5], v[222:223]
	v_fma_f64 v[18:19], v[10:11], v[215:216], -v[20:21]
	v_mul_f64 v[10:11], v[16:17], v[222:223]
	ds_read_b64 v[100:101], v219
	ds_read_b64 v[106:107], v85
	;; [unrolled: 1-line block ×3, first 2 shown]
	v_fma_f64 v[20:21], v[22:23], v[215:216], v[0:1]
	v_fma_f64 v[44:45], v[16:17], v[220:221], v[44:45]
	v_add_f64 v[0:1], v[162:163], v[66:67]
	v_fma_f64 v[22:23], v[4:5], v[220:221], -v[10:11]
	v_add_f64 v[4:5], v[164:165], v[80:81]
	v_add_f64 v[10:11], v[162:163], -v[66:67]
	v_add_f64 v[16:17], v[164:165], -v[80:81]
	v_add_f64 v[66:67], v[239:240], v[166:167]
	v_add_f64 v[80:81], v[192:193], v[168:169]
	v_add_f64 v[162:163], v[239:240], -v[166:167]
	v_add_f64 v[164:165], v[192:193], -v[168:169]
	v_add_f64 v[166:167], v[158:159], v[60:61]
	;; [unrolled: 4-line block ×3, first 2 shown]
	v_add_f64 v[160:161], v[80:81], v[4:5]
	v_add_f64 v[192:193], v[66:67], -v[0:1]
	v_add_f64 v[200:201], v[80:81], -v[4:5]
	;; [unrolled: 1-line block ×6, first 2 shown]
	v_add_f64 v[202:203], v[60:61], v[162:163]
	v_add_f64 v[215:216], v[64:65], v[164:165]
	;; [unrolled: 1-line block ×3, first 2 shown]
	v_add_f64 v[166:167], v[60:61], -v[162:163]
	v_add_f64 v[160:161], v[168:169], v[160:161]
	v_add_f64 v[168:169], v[64:65], -v[164:165]
	v_add_f64 v[164:165], v[164:165], -v[16:17]
	v_mul_f64 v[217:218], v[66:67], s[16:17]
	v_mul_f64 v[4:5], v[4:5], s[4:5]
	v_add_f64 v[60:61], v[10:11], -v[60:61]
	v_add_f64 v[64:65], v[16:17], -v[64:65]
	;; [unrolled: 1-line block ×3, first 2 shown]
	v_add_f64 v[10:11], v[202:203], v[10:11]
	v_add_f64 v[202:203], v[215:216], v[16:17]
	v_mul_f64 v[215:216], v[0:1], s[4:5]
	v_add_f64 v[16:17], v[96:97], v[158:159]
	s_waitcnt lgkmcnt(4)
	v_add_f64 v[0:1], v[62:63], v[160:161]
	v_mul_f64 v[62:63], v[80:81], s[16:17]
	v_mul_f64 v[96:97], v[166:167], s[18:19]
	;; [unrolled: 1-line block ×3, first 2 shown]
	v_fma_f64 v[168:169], v[192:193], s[6:7], -v[217:218]
	v_fma_f64 v[217:218], v[80:81], s[16:17], v[4:5]
	v_mul_f64 v[80:81], v[164:165], s[0:1]
	v_fma_f64 v[66:67], v[66:67], s[16:17], v[215:216]
	v_fma_f64 v[192:193], v[192:193], s[8:9], -v[215:216]
	v_mul_f64 v[215:216], v[162:163], s[0:1]
	v_fma_f64 v[4:5], v[200:201], s[8:9], -v[4:5]
	v_fma_f64 v[158:159], v[158:159], s[20:21], v[16:17]
	v_fma_f64 v[160:161], v[160:161], s[20:21], v[0:1]
	v_fma_f64 v[164:165], v[164:165], s[0:1], -v[166:167]
	v_fma_f64 v[166:167], v[64:65], s[24:25], v[166:167]
	v_fma_f64 v[64:65], v[64:65], s[22:23], -v[80:81]
	v_fma_f64 v[62:63], v[200:201], s[6:7], -v[62:63]
	ds_read_b64 v[200:201], v87
	ds_read_b64 v[80:81], v84
	v_fma_f64 v[162:163], v[162:163], s[0:1], -v[96:97]
	v_fma_f64 v[96:97], v[60:61], s[24:25], v[96:97]
	v_fma_f64 v[60:61], v[60:61], s[22:23], -v[215:216]
	v_add_f64 v[215:216], v[66:67], v[158:159]
	v_add_f64 v[66:67], v[168:169], v[158:159]
	;; [unrolled: 1-line block ×3, first 2 shown]
	s_waitcnt vmcnt(0)
	v_mul_f64 v[158:159], v[46:47], v[8:9]
	v_add_f64 v[220:221], v[4:5], v[160:161]
	v_mul_f64 v[4:5], v[2:3], v[8:9]
	v_fma_f64 v[222:223], v[202:203], s[14:15], v[64:65]
	v_fma_f64 v[8:9], v[202:203], s[14:15], v[164:165]
	v_add_f64 v[164:165], v[146:147], v[70:71]
	v_add_f64 v[70:71], v[146:147], -v[70:71]
	v_add_f64 v[146:147], v[237:238], v[152:153]
	v_add_f64 v[192:193], v[217:218], v[160:161]
	;; [unrolled: 1-line block ×3, first 2 shown]
	v_fma_f64 v[166:167], v[202:203], s[14:15], v[166:167]
	v_fma_f64 v[96:97], v[10:11], s[14:15], v[96:97]
	v_fma_f64 v[224:225], v[10:11], s[14:15], v[60:61]
	v_fma_f64 v[10:11], v[10:11], s[14:15], v[162:163]
	v_add_f64 v[60:61], v[222:223], v[168:169]
	v_add_f64 v[62:63], v[66:67], -v[8:9]
	v_add_f64 v[64:65], v[8:9], v[66:67]
	v_add_f64 v[66:67], v[168:169], -v[222:223]
	;; [unrolled: 2-line block ×4, first 2 shown]
	v_add_f64 v[168:169], v[142:143], v[72:73]
	v_add_f64 v[202:203], v[148:149], v[68:69]
	v_add_f64 v[72:73], v[72:73], -v[142:143]
	v_add_f64 v[68:69], v[68:69], -v[148:149]
	v_add_f64 v[148:149], v[146:147], v[164:165]
	v_fma_f64 v[158:159], v[2:3], v[6:7], -v[158:159]
	v_fma_f64 v[160:161], v[46:47], v[6:7], v[4:5]
	v_add_f64 v[4:5], v[220:221], -v[224:225]
	v_add_f64 v[6:7], v[10:11], v[217:218]
	v_add_f64 v[8:9], v[217:218], -v[10:11]
	v_add_f64 v[10:11], v[224:225], v[220:221]
	;; [unrolled: 2-line block ×3, first 2 shown]
	v_add_f64 v[217:218], v[144:145], -v[162:163]
	v_add_f64 v[220:221], v[146:147], -v[164:165]
	;; [unrolled: 1-line block ×6, first 2 shown]
	v_add_f64 v[222:223], v[72:73], v[150:151]
	v_add_f64 v[148:149], v[202:203], v[148:149]
	;; [unrolled: 1-line block ×4, first 2 shown]
	v_add_f64 v[168:169], v[72:73], -v[150:151]
	v_add_f64 v[202:203], v[68:69], -v[152:153]
	;; [unrolled: 1-line block ×6, first 2 shown]
	v_add_f64 v[74:75], v[222:223], v[74:75]
	v_mul_f64 v[162:163], v[162:163], s[4:5]
	v_mul_f64 v[222:223], v[144:145], s[16:17]
	s_waitcnt lgkmcnt(5)
	v_add_f64 v[68:69], v[98:99], v[148:149]
	v_mul_f64 v[98:99], v[164:165], s[4:5]
	v_mul_f64 v[164:165], v[146:147], s[16:17]
	v_add_f64 v[94:95], v[94:95], v[142:143]
	v_mul_f64 v[168:169], v[168:169], s[18:19]
	v_mul_f64 v[202:203], v[202:203], s[18:19]
	v_fma_f64 v[144:145], v[144:145], s[16:17], v[162:163]
	v_fma_f64 v[222:223], v[217:218], s[6:7], -v[222:223]
	v_fma_f64 v[162:163], v[217:218], s[8:9], -v[162:163]
	v_mul_f64 v[217:218], v[150:151], s[0:1]
	v_fma_f64 v[146:147], v[146:147], s[16:17], v[98:99]
	v_fma_f64 v[164:165], v[220:221], s[6:7], -v[164:165]
	v_fma_f64 v[98:99], v[220:221], s[8:9], -v[98:99]
	v_mul_f64 v[220:221], v[152:153], s[0:1]
	v_add_f64 v[70:71], v[224:225], v[70:71]
	v_fma_f64 v[142:143], v[142:143], s[20:21], v[94:95]
	v_fma_f64 v[148:149], v[148:149], s[20:21], v[68:69]
	v_fma_f64 v[150:151], v[150:151], s[0:1], -v[168:169]
	v_fma_f64 v[168:169], v[72:73], s[24:25], v[168:169]
	v_fma_f64 v[152:153], v[152:153], s[0:1], -v[202:203]
	v_fma_f64 v[72:73], v[72:73], s[22:23], -v[217:218]
	;; [unrolled: 1-line block ×3, first 2 shown]
	v_fma_f64 v[202:203], v[226:227], s[24:25], v[202:203]
	v_add_f64 v[46:47], v[166:167], v[215:216]
	v_add_f64 v[224:225], v[146:147], v[148:149]
	v_add_f64 v[146:147], v[222:223], v[142:143]
	v_add_f64 v[164:165], v[164:165], v[148:149]
	v_add_f64 v[222:223], v[162:163], v[142:143]
	v_add_f64 v[98:99], v[98:99], v[148:149]
	v_fma_f64 v[148:149], v[70:71], s[14:15], v[217:218]
	v_fma_f64 v[217:218], v[74:75], s[14:15], v[72:73]
	;; [unrolled: 1-line block ×4, first 2 shown]
	v_add_f64 v[2:3], v[192:193], -v[96:97]
	v_add_f64 v[220:221], v[144:145], v[142:143]
	v_fma_f64 v[202:203], v[70:71], s[14:15], v[202:203]
	v_fma_f64 v[168:169], v[74:75], s[14:15], v[168:169]
	v_add_f64 v[142:143], v[215:216], -v[166:167]
	v_add_f64 v[70:71], v[96:97], v[192:193]
	v_add_f64 v[150:151], v[148:149], v[222:223]
	v_add_f64 v[74:75], v[98:99], -v[217:218]
	v_add_f64 v[152:153], v[146:147], -v[162:163]
	v_add_f64 v[96:97], v[226:227], v[164:165]
	v_add_f64 v[162:163], v[162:163], v[146:147]
	v_add_f64 v[146:147], v[164:165], -v[226:227]
	v_add_f64 v[164:165], v[222:223], -v[148:149]
	v_add_f64 v[148:149], v[217:218], v[98:99]
	v_add_f64 v[98:99], v[132:133], v[182:183]
	;; [unrolled: 1-line block ×3, first 2 shown]
	v_add_f64 v[132:133], v[132:133], -v[182:183]
	v_add_f64 v[136:137], v[136:137], -v[180:181]
	v_add_f64 v[180:181], v[176:177], v[138:139]
	v_add_f64 v[182:183], v[178:179], v[140:141]
	v_add_f64 v[138:139], v[176:177], -v[138:139]
	v_add_f64 v[176:177], v[130:131], v[190:191]
	v_add_f64 v[130:131], v[190:191], -v[130:131]
	v_add_f64 v[140:141], v[178:179], -v[140:141]
	v_add_f64 v[178:179], v[134:135], v[241:242]
	v_add_f64 v[134:135], v[241:242], -v[134:135]
	v_add_f64 v[190:191], v[180:181], v[98:99]
	v_add_f64 v[192:193], v[182:183], v[166:167]
	v_add_f64 v[215:216], v[180:181], -v[98:99]
	v_add_f64 v[98:99], v[98:99], -v[176:177]
	;; [unrolled: 1-line block ×3, first 2 shown]
	v_add_f64 v[222:223], v[130:131], v[138:139]
	v_add_f64 v[217:218], v[182:183], -v[166:167]
	v_add_f64 v[166:167], v[166:167], -v[178:179]
	;; [unrolled: 1-line block ×3, first 2 shown]
	v_add_f64 v[176:177], v[176:177], v[190:191]
	v_add_f64 v[190:191], v[130:131], -v[138:139]
	v_add_f64 v[178:179], v[178:179], v[192:193]
	v_add_f64 v[192:193], v[134:135], -v[140:141]
	v_add_f64 v[235:236], v[132:133], -v[130:131]
	;; [unrolled: 1-line block ×3, first 2 shown]
	v_add_f64 v[132:133], v[222:223], v[132:133]
	v_mul_f64 v[98:99], v[98:99], s[4:5]
	v_mul_f64 v[222:223], v[180:181], s[16:17]
	v_add_f64 v[226:227], v[134:135], v[140:141]
	v_add_f64 v[140:141], v[140:141], -v[136:137]
	v_add_f64 v[92:93], v[92:93], v[176:177]
	s_waitcnt lgkmcnt(4)
	v_add_f64 v[130:131], v[100:101], v[178:179]
	v_mul_f64 v[100:101], v[166:167], s[4:5]
	v_mul_f64 v[166:167], v[182:183], s[16:17]
	;; [unrolled: 1-line block ×4, first 2 shown]
	v_fma_f64 v[180:181], v[180:181], s[16:17], v[98:99]
	v_fma_f64 v[222:223], v[215:216], s[6:7], -v[222:223]
	v_fma_f64 v[98:99], v[215:216], s[8:9], -v[98:99]
	v_mul_f64 v[215:216], v[138:139], s[0:1]
	v_add_f64 v[134:135], v[136:137], -v[134:135]
	v_add_f64 v[136:137], v[226:227], v[136:137]
	v_fma_f64 v[182:183], v[182:183], s[16:17], v[100:101]
	v_fma_f64 v[166:167], v[217:218], s[6:7], -v[166:167]
	v_fma_f64 v[100:101], v[217:218], s[8:9], -v[100:101]
	v_mul_f64 v[217:218], v[140:141], s[0:1]
	v_fma_f64 v[176:177], v[176:177], s[20:21], v[92:93]
	v_fma_f64 v[178:179], v[178:179], s[20:21], v[130:131]
	v_fma_f64 v[138:139], v[138:139], s[0:1], -v[190:191]
	v_fma_f64 v[190:191], v[235:236], s[24:25], v[190:191]
	v_fma_f64 v[140:141], v[140:141], s[0:1], -v[192:193]
	v_fma_f64 v[215:216], v[235:236], s[22:23], -v[215:216]
	v_fma_f64 v[192:193], v[134:135], s[24:25], v[192:193]
	v_fma_f64 v[134:135], v[134:135], s[22:23], -v[217:218]
	v_add_f64 v[217:218], v[222:223], v[176:177]
	v_add_f64 v[182:183], v[182:183], v[178:179]
	;; [unrolled: 1-line block ×4, first 2 shown]
	v_fma_f64 v[178:179], v[132:133], s[14:15], v[190:191]
	v_fma_f64 v[190:191], v[132:133], s[14:15], v[215:216]
	;; [unrolled: 1-line block ×4, first 2 shown]
	v_add_f64 v[144:145], v[202:203], v[220:221]
	v_add_f64 v[138:139], v[220:221], -v[202:203]
	v_add_f64 v[72:73], v[224:225], -v[168:169]
	v_add_f64 v[180:181], v[180:181], v[176:177]
	v_add_f64 v[98:99], v[98:99], v[176:177]
	v_fma_f64 v[176:177], v[136:137], s[14:15], v[192:193]
	v_add_f64 v[215:216], v[217:218], -v[140:141]
	v_add_f64 v[220:221], v[132:133], v[222:223]
	v_add_f64 v[140:141], v[140:141], v[217:218]
	v_add_f64 v[217:218], v[222:223], -v[132:133]
	v_add_f64 v[132:133], v[112:113], v[128:129]
	v_add_f64 v[112:113], v[112:113], -v[128:129]
	v_add_f64 v[128:129], v[120:121], v[116:117]
	v_fma_f64 v[134:135], v[136:137], s[14:15], v[134:135]
	v_add_f64 v[136:137], v[168:169], v[224:225]
	v_add_f64 v[168:169], v[100:101], -v[190:191]
	v_add_f64 v[190:191], v[190:191], v[100:101]
	v_add_f64 v[100:101], v[110:111], v[126:127]
	v_add_f64 v[110:111], v[110:111], -v[126:127]
	v_add_f64 v[126:127], v[118:119], v[114:115]
	v_add_f64 v[114:115], v[118:119], -v[114:115]
	v_add_f64 v[116:117], v[120:121], -v[116:117]
	v_add_f64 v[118:119], v[231:232], v[122:123]
	v_add_f64 v[120:121], v[233:234], v[124:125]
	v_add_f64 v[122:123], v[122:123], -v[231:232]
	v_add_f64 v[124:125], v[124:125], -v[233:234]
	v_add_f64 v[222:223], v[128:129], v[132:133]
	v_add_f64 v[202:203], v[134:135], v[98:99]
	v_add_f64 v[98:99], v[98:99], -v[134:135]
	v_add_f64 v[134:135], v[126:127], v[100:101]
	v_add_f64 v[224:225], v[126:127], -v[100:101]
	v_add_f64 v[226:227], v[128:129], -v[132:133]
	;; [unrolled: 1-line block ×6, first 2 shown]
	v_add_f64 v[231:232], v[122:123], v[114:115]
	v_add_f64 v[233:234], v[124:125], v[116:117]
	;; [unrolled: 1-line block ×4, first 2 shown]
	v_add_f64 v[134:135], v[122:123], -v[114:115]
	v_add_f64 v[222:223], v[124:125], -v[116:117]
	;; [unrolled: 1-line block ×6, first 2 shown]
	v_add_f64 v[110:111], v[231:232], v[110:111]
	v_add_f64 v[112:113], v[233:234], v[112:113]
	v_mul_f64 v[100:101], v[100:101], s[4:5]
	v_mul_f64 v[231:232], v[126:127], s[16:17]
	s_waitcnt lgkmcnt(3)
	v_add_f64 v[233:234], v[106:107], v[120:121]
	v_mul_f64 v[106:107], v[132:133], s[4:5]
	v_mul_f64 v[132:133], v[128:129], s[16:17]
	v_add_f64 v[90:91], v[90:91], v[118:119]
	v_mul_f64 v[134:135], v[134:135], s[18:19]
	v_mul_f64 v[222:223], v[222:223], s[18:19]
	v_fma_f64 v[126:127], v[126:127], s[16:17], v[100:101]
	v_fma_f64 v[231:232], v[224:225], s[6:7], -v[231:232]
	v_fma_f64 v[100:101], v[224:225], s[8:9], -v[100:101]
	v_mul_f64 v[224:225], v[114:115], s[0:1]
	v_fma_f64 v[128:129], v[128:129], s[16:17], v[106:107]
	v_fma_f64 v[132:133], v[226:227], s[6:7], -v[132:133]
	v_fma_f64 v[106:107], v[226:227], s[8:9], -v[106:107]
	v_mul_f64 v[226:227], v[116:117], s[0:1]
	v_fma_f64 v[118:119], v[118:119], s[20:21], v[90:91]
	v_fma_f64 v[120:121], v[120:121], s[20:21], v[233:234]
	v_fma_f64 v[114:115], v[114:115], s[0:1], -v[134:135]
	v_fma_f64 v[134:135], v[122:123], s[24:25], v[134:135]
	v_fma_f64 v[116:117], v[116:117], s[0:1], -v[222:223]
	;; [unrolled: 2-line block ×3, first 2 shown]
	v_fma_f64 v[124:125], v[124:125], s[22:23], -v[226:227]
	v_add_f64 v[126:127], v[126:127], v[118:119]
	v_add_f64 v[128:129], v[128:129], v[120:121]
	;; [unrolled: 1-line block ×6, first 2 shown]
	v_fma_f64 v[118:119], v[112:113], s[14:15], v[222:223]
	v_fma_f64 v[120:121], v[110:111], s[14:15], v[134:135]
	;; [unrolled: 1-line block ×6, first 2 shown]
	buffer_load_dword v84, off, s[36:39], 0 offset:12 ; 4-byte Folded Reload
	buffer_load_dword v85, off, s[36:39], 0 offset:16 ; 4-byte Folded Reload
	v_add_f64 v[192:193], v[176:177], v[180:181]
	v_add_f64 v[166:167], v[182:183], -v[178:179]
	v_add_f64 v[114:115], v[180:181], -v[176:177]
	v_add_f64 v[116:117], v[178:179], v[182:183]
	v_add_f64 v[178:179], v[124:125], v[100:101]
	v_add_f64 v[222:223], v[106:107], -v[122:123]
	v_add_f64 v[180:181], v[224:225], -v[112:113]
	v_add_f64 v[226:227], v[110:111], v[132:133]
	v_add_f64 v[112:113], v[112:113], v[224:225]
	v_add_f64 v[110:111], v[132:133], -v[110:111]
	v_add_f64 v[100:101], v[100:101], -v[124:125]
	v_add_f64 v[224:225], v[122:123], v[106:107]
	v_add_f64 v[106:107], v[154:155], v[76:77]
	v_add_f64 v[122:123], v[156:157], v[78:79]
	v_add_f64 v[76:77], v[154:155], -v[76:77]
	v_add_f64 v[78:79], v[156:157], -v[78:79]
	v_add_f64 v[124:125], v[186:187], v[56:57]
	v_add_f64 v[132:133], v[188:189], v[58:59]
	v_add_f64 v[56:57], v[186:187], -v[56:57]
	v_add_f64 v[58:59], v[188:189], -v[58:59]
	;; [unrolled: 4-line block ×4, first 2 shown]
	v_add_f64 v[106:107], v[106:107], -v[154:155]
	v_add_f64 v[122:123], v[122:123], -v[156:157]
	;; [unrolled: 1-line block ×4, first 2 shown]
	v_add_f64 v[188:189], v[40:41], v[56:57]
	v_add_f64 v[231:232], v[42:43], v[58:59]
	;; [unrolled: 1-line block ×3, first 2 shown]
	v_add_f64 v[154:155], v[40:41], -v[56:57]
	v_add_f64 v[104:105], v[156:157], v[104:105]
	v_add_f64 v[156:157], v[42:43], -v[58:59]
	v_add_f64 v[40:41], v[76:77], -v[40:41]
	;; [unrolled: 1-line block ×5, first 2 shown]
	v_add_f64 v[76:77], v[188:189], v[76:77]
	v_add_f64 v[78:79], v[231:232], v[78:79]
	v_mul_f64 v[106:107], v[106:107], s[4:5]
	v_mul_f64 v[188:189], v[124:125], s[16:17]
	;; [unrolled: 1-line block ×4, first 2 shown]
	v_add_f64 v[88:89], v[88:89], v[102:103]
	s_waitcnt lgkmcnt(2)
	v_add_f64 v[108:109], v[108:109], v[104:105]
	v_mul_f64 v[154:155], v[154:155], s[18:19]
	v_mul_f64 v[156:157], v[156:157], s[18:19]
	v_fma_f64 v[124:125], v[124:125], s[16:17], v[106:107]
	v_fma_f64 v[188:189], v[182:183], s[6:7], -v[188:189]
	v_fma_f64 v[106:107], v[182:183], s[8:9], -v[106:107]
	v_mul_f64 v[182:183], v[56:57], s[0:1]
	v_fma_f64 v[132:133], v[132:133], s[16:17], v[122:123]
	v_fma_f64 v[231:232], v[186:187], s[6:7], -v[231:232]
	v_fma_f64 v[122:123], v[186:187], s[8:9], -v[122:123]
	v_mul_f64 v[186:187], v[58:59], s[0:1]
	v_fma_f64 v[102:103], v[102:103], s[20:21], v[88:89]
	v_fma_f64 v[104:105], v[104:105], s[20:21], v[108:109]
	v_fma_f64 v[56:57], v[56:57], s[0:1], -v[154:155]
	v_fma_f64 v[154:155], v[40:41], s[24:25], v[154:155]
	v_fma_f64 v[58:59], v[58:59], s[0:1], -v[156:157]
	;; [unrolled: 2-line block ×3, first 2 shown]
	v_fma_f64 v[42:43], v[42:43], s[22:23], -v[186:187]
	v_add_f64 v[124:125], v[124:125], v[102:103]
	v_add_f64 v[132:133], v[132:133], v[104:105]
	;; [unrolled: 1-line block ×6, first 2 shown]
	v_fma_f64 v[40:41], v[76:77], s[14:15], v[40:41]
	v_fma_f64 v[42:43], v[78:79], s[14:15], v[42:43]
	v_add_f64 v[134:135], v[118:119], v[126:127]
	v_add_f64 v[176:177], v[128:129], -v[120:121]
	v_fma_f64 v[122:123], v[76:77], s[14:15], v[154:155]
	v_fma_f64 v[56:57], v[76:77], s[14:15], v[56:57]
	v_add_f64 v[76:77], v[126:127], -v[118:119]
	v_add_f64 v[118:119], v[120:121], v[128:129]
	v_add_f64 v[188:189], v[104:105], -v[40:41]
	v_add_f64 v[120:121], v[42:43], v[102:103]
	;; [unrolled: 2-line block ×3, first 2 shown]
	v_add_f64 v[40:41], v[48:49], v[172:173]
	v_add_f64 v[104:105], v[52:53], v[32:33]
	v_add_f64 v[32:33], v[52:53], -v[32:33]
	v_add_f64 v[52:53], v[36:37], v[82:83]
	v_add_f64 v[36:37], v[82:83], -v[36:37]
	;; [unrolled: 2-line block ×5, first 2 shown]
	v_add_f64 v[40:41], v[40:41], -v[52:53]
	v_add_f64 v[104:105], v[52:53], -v[104:105]
	v_fma_f64 v[58:59], v[78:79], s[14:15], v[58:59]
	v_add_f64 v[231:232], v[56:57], v[186:187]
	v_add_f64 v[186:187], v[186:187], -v[56:57]
	v_add_f64 v[56:57], v[50:51], v[174:175]
	v_add_f64 v[52:53], v[52:53], v[82:83]
	v_fma_f64 v[106:107], v[78:79], s[14:15], v[156:157]
	v_add_f64 v[48:49], v[48:49], -v[172:173]
	v_add_f64 v[50:51], v[50:51], -v[174:175]
	v_add_f64 v[126:127], v[182:183], -v[58:59]
	v_add_f64 v[58:59], v[58:59], v[182:183]
	v_add_f64 v[182:183], v[38:39], v[34:35]
	;; [unrolled: 1-line block ×3, first 2 shown]
	s_waitcnt vmcnt(0)
	v_add_f64 v[86:87], v[84:85], v[52:53]
	buffer_load_dword v84, off, s[36:39], 0 offset:4 ; 4-byte Folded Reload
	buffer_load_dword v85, off, s[36:39], 0 offset:8 ; 4-byte Folded Reload
	s_waitcnt lgkmcnt(0)
	; wave barrier
	s_waitcnt lgkmcnt(0)
	ds_write2_b64 v210, v[16:17], v[46:47] offset1:49
	ds_write2_b64 v210, v[60:61], v[62:63] offset0:98 offset1:147
	ds_write2_b64 v210, v[64:65], v[66:67] offset0:196 offset1:245
	;; [unrolled: 1-line block ×4, first 2 shown]
	buffer_load_dword v16, off, s[36:39], 0 offset:24 ; 4-byte Folded Reload
	v_add_f64 v[172:173], v[128:129], -v[56:57]
	v_add_f64 v[56:57], v[56:57], -v[54:55]
	;; [unrolled: 1-line block ×3, first 2 shown]
	v_add_f64 v[174:175], v[36:37], v[32:33]
	v_add_f64 v[82:83], v[36:37], -v[32:33]
	v_add_f64 v[54:55], v[54:55], v[156:157]
	v_add_f64 v[156:157], v[38:39], -v[34:35]
	v_add_f64 v[38:39], v[50:51], -v[38:39]
	;; [unrolled: 1-line block ×3, first 2 shown]
	v_add_f64 v[50:51], v[182:183], v[50:51]
	v_mul_f64 v[56:57], v[56:57], s[4:5]
	v_mul_f64 v[182:183], v[128:129], s[16:17]
	v_add_u32_e32 v150, 0xc00, v210
	v_add_f64 v[36:37], v[48:49], -v[36:37]
	v_add_f64 v[32:33], v[32:33], -v[48:49]
	v_add_f64 v[48:49], v[174:175], v[48:49]
	v_mul_f64 v[40:41], v[40:41], s[4:5]
	v_mul_f64 v[174:175], v[104:105], s[16:17]
	ds_write2_b64 v150, v[152:153], v[162:163] offset0:106 offset1:155
	v_add_f64 v[200:201], v[200:201], v[54:55]
	v_mul_f64 v[82:83], v[82:83], s[18:19]
	v_mul_f64 v[156:157], v[156:157], s[18:19]
	v_fma_f64 v[128:129], v[128:129], s[16:17], v[56:57]
	v_fma_f64 v[182:183], v[172:173], s[6:7], -v[182:183]
	v_fma_f64 v[56:57], v[172:173], s[8:9], -v[56:57]
	v_mul_f64 v[172:173], v[34:35], s[0:1]
	ds_write2_b64 v228, v[164:165], v[138:139] offset0:76 offset1:125
	v_fma_f64 v[104:105], v[104:105], s[16:17], v[40:41]
	v_fma_f64 v[174:175], v[170:171], s[6:7], -v[174:175]
	v_fma_f64 v[40:41], v[170:171], s[8:9], -v[40:41]
	v_mul_f64 v[170:171], v[32:33], s[0:1]
	v_fma_f64 v[52:53], v[52:53], s[20:21], v[86:87]
	v_fma_f64 v[54:55], v[54:55], s[20:21], v[200:201]
	v_fma_f64 v[32:33], v[32:33], s[0:1], -v[82:83]
	v_fma_f64 v[34:35], v[34:35], s[0:1], -v[156:157]
	v_fma_f64 v[156:157], v[38:39], s[24:25], v[156:157]
	v_fma_f64 v[38:39], v[38:39], s[22:23], -v[172:173]
	v_fma_f64 v[82:83], v[36:37], s[24:25], v[82:83]
	v_fma_f64 v[36:37], v[36:37], s[22:23], -v[170:171]
	v_add_f64 v[170:171], v[174:175], v[52:53]
	v_add_f64 v[172:173], v[182:183], v[54:55]
	;; [unrolled: 1-line block ×3, first 2 shown]
	v_fma_f64 v[34:35], v[50:51], s[14:15], v[34:35]
	v_fma_f64 v[32:33], v[48:49], s[14:15], v[32:33]
	;; [unrolled: 1-line block ×3, first 2 shown]
	v_add_f64 v[104:105], v[104:105], v[52:53]
	v_add_f64 v[52:53], v[56:57], v[54:55]
	v_fma_f64 v[36:37], v[48:49], s[14:15], v[36:37]
	v_add_f64 v[78:79], v[106:107], v[124:125]
	v_add_f64 v[154:155], v[132:133], -v[122:123]
	v_fma_f64 v[56:57], v[48:49], s[14:15], v[82:83]
	v_add_f64 v[48:49], v[124:125], -v[106:107]
	v_add_f64 v[174:175], v[122:123], v[132:133]
	v_add_f64 v[82:83], v[38:39], v[40:41]
	v_add_f64 v[106:107], v[170:171], -v[34:35]
	v_add_f64 v[239:240], v[32:33], v[172:173]
	v_add_f64 v[34:35], v[34:35], v[170:171]
	v_add_f64 v[170:171], v[172:173], -v[32:33]
	v_add_f64 v[32:33], v[40:41], -v[38:39]
	v_add_f64 v[40:41], v[30:31], v[160:161]
	v_add_f64 v[122:123], v[26:27], v[44:45]
	v_add_f64 v[237:238], v[52:53], -v[36:37]
	v_add_f64 v[36:37], v[36:37], v[52:53]
	v_add_f64 v[38:39], v[28:29], v[158:159]
	;; [unrolled: 1-line block ×3, first 2 shown]
	v_add_f64 v[22:23], v[24:25], -v[22:23]
	v_add_f64 v[24:25], v[26:27], -v[44:45]
	v_add_f64 v[44:45], v[14:15], v[20:21]
	v_add_f64 v[14:15], v[20:21], -v[14:15]
	v_add_f64 v[20:21], v[122:123], v[40:41]
	v_add_f64 v[26:27], v[12:13], v[18:19]
	v_add_f64 v[12:13], v[18:19], -v[12:13]
	v_add_f64 v[18:19], v[52:53], v[38:39]
	v_add_f64 v[28:29], v[28:29], -v[158:159]
	v_add_f64 v[30:31], v[30:31], -v[160:161]
	;; [unrolled: 1-line block ×5, first 2 shown]
	v_add_f64 v[158:159], v[14:15], v[24:25]
	s_waitcnt vmcnt(0)
	v_lshl_add_u32 v151, v16, 3, 0
	v_add_u32_e32 v152, 0x1000, v151
	v_add_u32_e32 v153, 0x1800, v151
	ds_write2_b64 v152, v[92:93], v[192:193] offset0:174 offset1:223
	ds_write2_b64 v153, v[202:203], v[215:216] offset0:16 offset1:65
	;; [unrolled: 1-line block ×3, first 2 shown]
	ds_write_b64 v151, v[114:115] offset:7840
	buffer_load_dword v16, off, s[36:39], 0 offset:28 ; 4-byte Folded Reload
	v_add_f64 v[20:21], v[44:45], v[20:21]
	v_add_f64 v[128:129], v[128:129], v[54:55]
	v_fma_f64 v[54:55], v[50:51], s[14:15], v[156:157]
	v_add_f64 v[124:125], v[52:53], -v[38:39]
	v_add_f64 v[38:39], v[38:39], -v[26:27]
	;; [unrolled: 1-line block ×3, first 2 shown]
	v_add_f64 v[156:157], v[12:13], v[22:23]
	v_add_f64 v[18:19], v[26:27], v[18:19]
	v_add_f64 v[44:45], v[14:15], -v[24:25]
	v_add_f64 v[14:15], v[30:31], -v[14:15]
	v_add_f64 v[24:25], v[24:25], -v[30:31]
	v_add_f64 v[30:31], v[158:159], v[30:31]
	v_add_f64 v[158:159], v[80:81], v[20:21]
	v_mul_f64 v[40:41], v[40:41], s[4:5]
	v_mul_f64 v[80:81], v[122:123], s[16:17]
	v_add_f64 v[26:27], v[12:13], -v[22:23]
	v_add_f64 v[12:13], v[28:29], -v[12:13]
	;; [unrolled: 1-line block ×3, first 2 shown]
	v_add_f64 v[28:29], v[156:157], v[28:29]
	v_mul_f64 v[38:39], v[38:39], s[4:5]
	v_mul_f64 v[156:157], v[52:53], s[16:17]
	v_add_f64 v[84:85], v[84:85], v[18:19]
	v_mul_f64 v[44:45], v[44:45], s[18:19]
	v_fma_f64 v[122:123], v[122:123], s[16:17], v[40:41]
	v_fma_f64 v[80:81], v[132:133], s[6:7], -v[80:81]
	v_fma_f64 v[40:41], v[132:133], s[8:9], -v[40:41]
	v_mul_f64 v[132:133], v[24:25], s[0:1]
	v_mul_f64 v[26:27], v[26:27], s[18:19]
	v_fma_f64 v[52:53], v[52:53], s[16:17], v[38:39]
	v_fma_f64 v[156:157], v[124:125], s[6:7], -v[156:157]
	v_fma_f64 v[38:39], v[124:125], s[8:9], -v[38:39]
	v_mul_f64 v[124:125], v[22:23], s[0:1]
	v_fma_f64 v[18:19], v[18:19], s[20:21], v[84:85]
	v_fma_f64 v[24:25], v[24:25], s[0:1], -v[44:45]
	v_fma_f64 v[44:45], v[14:15], s[24:25], v[44:45]
	v_fma_f64 v[14:15], v[14:15], s[22:23], -v[132:133]
	;; [unrolled: 2-line block ×4, first 2 shown]
	v_add_f64 v[52:53], v[52:53], v[18:19]
	v_add_f64 v[124:125], v[156:157], v[18:19]
	;; [unrolled: 1-line block ×3, first 2 shown]
	v_fma_f64 v[38:39], v[30:31], s[14:15], v[44:45]
	v_fma_f64 v[14:15], v[30:31], s[14:15], v[14:15]
	;; [unrolled: 1-line block ×3, first 2 shown]
	v_add_f64 v[122:123], v[122:123], v[20:21]
	v_add_f64 v[80:81], v[80:81], v[20:21]
	;; [unrolled: 1-line block ×3, first 2 shown]
	v_fma_f64 v[12:13], v[28:29], s[14:15], v[12:13]
	v_add_f64 v[50:51], v[54:55], v[104:105]
	v_fma_f64 v[26:27], v[28:29], s[14:15], v[26:27]
	v_fma_f64 v[22:23], v[28:29], s[14:15], v[22:23]
	v_add_f64 v[40:41], v[38:39], v[52:53]
	v_add_f64 v[28:29], v[104:105], -v[54:55]
	v_add_f64 v[44:45], v[14:15], v[18:19]
	v_add_f64 v[54:55], v[124:125], -v[24:25]
	;; [unrolled: 2-line block ×3, first 2 shown]
	v_add_f64 v[172:173], v[20:21], -v[12:13]
	v_add_f64 v[245:246], v[12:13], v[20:21]
	v_add_f64 v[12:13], v[52:53], -v[38:39]
	v_lshl_add_u32 v114, v185, 3, 0
	v_add_u32_e32 v115, 0x4000, v114
	v_add_f64 v[235:236], v[128:129], -v[56:57]
	v_add_f64 v[30:31], v[56:57], v[128:129]
	v_add_f64 v[160:161], v[122:123], -v[26:27]
	v_add_f64 v[241:242], v[22:23], v[80:81]
	v_add_f64 v[243:244], v[80:81], -v[22:23]
	v_add_f64 v[38:39], v[26:27], v[122:123]
	v_mov_b32_e32 v162, v250
	v_mov_b32_e32 v215, v229
	;; [unrolled: 1-line block ×7, first 2 shown]
	s_waitcnt vmcnt(0)
	v_lshl_add_u32 v98, v16, 3, 0
	v_add_u32_e32 v99, 0x2000, v98
	ds_write2_b64 v99, v[90:91], v[134:135] offset0:5 offset1:54
	ds_write2_b64 v99, v[178:179], v[180:181] offset0:103 offset1:152
	;; [unrolled: 1-line block ×3, first 2 shown]
	ds_write_b64 v98, v[76:77] offset:10584
	v_lshl_add_u32 v90, v195, 3, 0
	v_add_u32_e32 v91, 0x2800, v90
	ds_write2_b64 v91, v[88:89], v[78:79] offset0:92 offset1:141
	ds_write2_b64 v91, v[120:121], v[126:127] offset0:190 offset1:239
	v_lshl_add_u32 v89, v194, 3, 0
	v_add_u32_e32 v88, 0x3000, v90
	v_add_u32_e32 v112, 0x3000, v89
	;; [unrolled: 1-line block ×3, first 2 shown]
	ds_write2_b64 v88, v[58:59], v[42:43] offset0:32 offset1:81
	ds_write_b64 v90, v[48:49] offset:13328
	ds_write2_b64 v112, v[86:87], v[50:51] offset0:179 offset1:228
	ds_write2_b64 v113, v[82:83], v[106:107] offset0:21 offset1:70
	;; [unrolled: 1-line block ×3, first 2 shown]
	ds_write_b64 v89, v[28:29] offset:16072
	ds_write2_b64 v115, v[84:85], v[40:41] offset0:10 offset1:59
	ds_write2_b64 v115, v[44:45], v[54:55] offset0:108 offset1:157
	;; [unrolled: 1-line block ×3, first 2 shown]
	ds_write_b64 v114, v[12:13] offset:18816
	s_waitcnt lgkmcnt(0)
	; wave barrier
	s_waitcnt lgkmcnt(0)
	ds_read2_b64 v[56:59], v206 offset0:87 offset1:136
	ds_read2_b64 v[64:67], v228 offset0:125 offset1:174
	;; [unrolled: 1-line block ×12, first 2 shown]
	ds_read_b64 v[180:181], v210
	ds_read_b64 v[182:183], v247
	ds_read_b64 v[156:157], v219
	ds_read_b64 v[128:129], v249
	ds_read2_b64 v[124:127], v215 offset0:65 offset1:114
	ds_read2_b64 v[80:83], v255 offset0:111 offset1:160
	ds_read2_b64 v[120:123], v248 offset0:157 offset1:206
	ds_read2_b64 v[40:43], v228 offset0:27 offset1:76
	ds_read2_b64 v[32:35], v212 offset0:201 offset1:250
	ds_read2_b64 v[44:47], v213 offset0:119 offset1:168
	ds_read2_b64 v[24:27], v215 offset0:163 offset1:212
	ds_read2_b64 v[16:19], v230 offset0:81 offset1:130
	ds_read2_b64 v[20:23], v252 offset0:127 offset1:176
	ds_read_b64 v[100:101], v251
	ds_read_b64 v[28:29], v254
	ds_read_b64 v[12:13], v211
	v_mov_b32_e32 v211, v206
	s_waitcnt lgkmcnt(0)
	; wave barrier
	s_waitcnt lgkmcnt(0)
	ds_write2_b64 v210, v[0:1], v[2:3] offset1:49
	ds_write2_b64 v210, v[4:5], v[6:7] offset0:98 offset1:147
	ds_write2_b64 v210, v[8:9], v[10:11] offset0:196 offset1:245
	;; [unrolled: 1-line block ×9, first 2 shown]
	ds_write_b64 v151, v[116:117] offset:7840
	ds_write2_b64 v99, v[233:234], v[176:177] offset0:5 offset1:54
	ds_write2_b64 v99, v[222:223], v[226:227] offset0:103 offset1:152
	ds_write2_b64 v99, v[110:111], v[224:225] offset0:201 offset1:250
	ds_write_b64 v98, v[118:119] offset:10584
	ds_write2_b64 v91, v[108:109], v[154:155] offset0:92 offset1:141
	ds_write2_b64 v91, v[188:189], v[231:232] offset0:190 offset1:239
	ds_write2_b64 v88, v[186:187], v[102:103] offset0:32 offset1:81
	;; [unrolled: 4-line block ×4, first 2 shown]
	ds_write_b64 v114, v[38:39] offset:18816
	s_waitcnt lgkmcnt(0)
	; wave barrier
	s_waitcnt lgkmcnt(0)
	s_and_saveexec_b64 s[30:31], vcc
	s_cbranch_execz .LBB0_15
; %bb.14:
	v_mul_i32_i24_e32 v158, 6, v214
	v_mov_b32_e32 v159, 0
	v_lshlrev_b64 v[0:1], 4, v[158:159]
	v_mov_b32_e32 v160, s13
	v_add_co_u32_e32 v14, vcc, s12, v0
	v_addc_co_u32_e32 v15, vcc, v160, v1, vcc
	v_add_co_u32_e32 v4, vcc, s28, v14
	v_addc_co_u32_e32 v5, vcc, 0, v15, vcc
	s_movk_i32 s29, 0x1540
	v_add_co_u32_e32 v8, vcc, s29, v14
	s_movk_i32 s13, 0x1500
	v_addc_co_u32_e32 v9, vcc, 0, v15, vcc
	v_add_co_u32_e32 v14, vcc, s13, v14
	v_addc_co_u32_e32 v15, vcc, 0, v15, vcc
	global_load_dwordx4 v[0:3], v[4:5], off offset:1280
	s_nop 0
	global_load_dwordx4 v[4:7], v[4:5], off offset:1344
	s_nop 0
	;; [unrolled: 2-line block ×3, first 2 shown]
	global_load_dwordx4 v[36:39], v[14:15], off offset:48
	global_load_dwordx4 v[68:71], v[14:15], off offset:32
	;; [unrolled: 1-line block ×3, first 2 shown]
	ds_read2_b64 v[96:99], v228 offset0:125 offset1:174
	ds_read2_b64 v[112:115], v163 offset0:127 offset1:176
	;; [unrolled: 1-line block ×6, first 2 shown]
	buffer_load_dword v15, off, s[36:39], 0 offset:48 ; 4-byte Folded Reload
	v_mul_i32_i24_e32 v158, 6, v209
	v_lshlrev_b64 v[30:31], 4, v[158:159]
	v_mul_i32_i24_e32 v14, 0xffffffd0, v214
	v_add_co_u32_e32 v130, vcc, s12, v30
	v_addc_co_u32_e32 v131, vcc, v160, v31, vcc
	v_add_co_u32_e32 v30, vcc, s13, v130
	v_addc_co_u32_e32 v31, vcc, 0, v131, vcc
	;; [unrolled: 2-line block ×4, first 2 shown]
	v_mul_i32_i24_e32 v158, 6, v208
	s_waitcnt vmcnt(3) lgkmcnt(3)
	v_mul_f64 v[136:137], v[38:39], v[118:119]
	s_waitcnt vmcnt(2) lgkmcnt(2)
	v_mul_f64 v[154:155], v[70:71], v[88:89]
	;; [unrolled: 2-line block ×3, first 2 shown]
	v_mul_f64 v[148:149], v[72:73], v[148:149]
	s_waitcnt vmcnt(0)
	v_add_u32_e32 v14, v15, v14
	ds_read_b64 v[14:15], v14
	global_load_dwordx4 v[150:153], v[102:103], off offset:1280
	global_load_dwordx4 v[161:164], v[30:31], off offset:48
	;; [unrolled: 1-line block ×6, first 2 shown]
	v_mul_f64 v[30:31], v[2:3], v[96:97]
	v_mul_f64 v[102:103], v[10:11], v[114:115]
	s_waitcnt lgkmcnt(1)
	v_mul_f64 v[130:131], v[6:7], v[108:109]
	v_mul_f64 v[114:115], v[8:9], v[114:115]
	;; [unrolled: 1-line block ×6, first 2 shown]
	v_fma_f64 v[0:1], v[64:65], v[0:1], -v[30:31]
	v_fma_f64 v[8:9], v[22:23], v[8:9], -v[102:103]
	;; [unrolled: 1-line block ×3, first 2 shown]
	v_fma_f64 v[10:11], v[22:23], v[10:11], v[114:115]
	v_fma_f64 v[2:3], v[64:65], v[2:3], v[96:97]
	v_fma_f64 v[22:23], v[18:19], v[36:37], -v[136:137]
	v_fma_f64 v[36:37], v[26:27], v[72:73], -v[177:178]
	v_fma_f64 v[6:7], v[60:61], v[6:7], v[108:109]
	v_fma_f64 v[30:31], v[52:53], v[68:69], -v[154:155]
	v_fma_f64 v[26:27], v[26:27], v[74:75], v[148:149]
	v_fma_f64 v[18:19], v[18:19], v[38:39], v[118:119]
	v_add_f64 v[38:39], v[0:1], -v[8:9]
	v_add_f64 v[60:61], v[2:3], v[10:11]
	v_add_f64 v[0:1], v[0:1], v[8:9]
	v_add_f64 v[2:3], v[2:3], -v[10:11]
	v_add_f64 v[10:11], v[36:37], -v[4:5]
	v_add_f64 v[4:5], v[36:37], v[4:5]
	v_fma_f64 v[52:53], v[52:53], v[70:71], v[88:89]
	v_add_f64 v[8:9], v[22:23], -v[30:31]
	v_add_f64 v[64:65], v[26:27], v[6:7]
	v_add_f64 v[22:23], v[22:23], v[30:31]
	v_add_f64 v[6:7], v[26:27], -v[6:7]
	ds_read2_b64 v[189:192], v213 offset0:119 offset1:168
	v_add_f64 v[72:73], v[0:1], v[4:5]
	v_add_f64 v[68:69], v[18:19], v[52:53]
	v_add_f64 v[18:19], v[18:19], -v[52:53]
	v_add_f64 v[30:31], v[8:9], -v[10:11]
	v_add_f64 v[36:37], v[60:61], v[64:65]
	v_add_f64 v[74:75], v[0:1], -v[22:23]
	v_add_f64 v[88:89], v[22:23], -v[4:5]
	;; [unrolled: 1-line block ×3, first 2 shown]
	v_add_f64 v[22:23], v[22:23], v[72:73]
	v_add_f64 v[8:9], v[8:9], v[10:11]
	v_add_f64 v[52:53], v[60:61], -v[68:69]
	v_add_f64 v[70:71], v[68:69], -v[64:65]
	;; [unrolled: 1-line block ×4, first 2 shown]
	v_add_f64 v[18:19], v[18:19], v[6:7]
	v_add_f64 v[10:11], v[10:11], -v[38:39]
	v_add_f64 v[0:1], v[4:5], -v[0:1]
	v_add_f64 v[4:5], v[6:7], -v[2:3]
	v_mul_f64 v[6:7], v[30:31], s[18:19]
	v_add_f64 v[30:31], v[68:69], v[36:37]
	v_mul_f64 v[68:69], v[88:89], s[16:17]
	v_add_f64 v[12:13], v[12:13], v[22:23]
	v_add_f64 v[60:61], v[64:65], -v[60:61]
	v_add_f64 v[8:9], v[38:39], v[8:9]
	v_mul_f64 v[36:37], v[52:53], s[4:5]
	v_mul_f64 v[38:39], v[70:71], s[16:17]
	;; [unrolled: 1-line block ×4, first 2 shown]
	v_add_f64 v[2:3], v[2:3], v[18:19]
	v_mul_f64 v[18:19], v[10:11], s[0:1]
	s_waitcnt lgkmcnt(1)
	v_add_f64 v[14:15], v[14:15], v[30:31]
	v_mul_f64 v[72:73], v[4:5], s[0:1]
	v_fma_f64 v[74:75], v[74:75], s[4:5], v[68:69]
	v_fma_f64 v[22:23], v[22:23], s[20:21], v[12:13]
	;; [unrolled: 1-line block ×4, first 2 shown]
	v_fma_f64 v[4:5], v[4:5], s[0:1], -v[70:71]
	v_fma_f64 v[18:19], v[26:27], s[22:23], -v[18:19]
	v_fma_f64 v[26:27], v[30:31], s[20:21], v[14:15]
	v_fma_f64 v[30:31], v[60:61], s[8:9], -v[36:37]
	v_fma_f64 v[36:37], v[0:1], s[8:9], -v[64:65]
	;; [unrolled: 1-line block ×3, first 2 shown]
	v_add_f64 v[96:97], v[74:75], v[22:23]
	ds_read2_b64 v[72:75], v212 offset0:201 offset1:250
	v_fma_f64 v[0:1], v[0:1], s[6:7], -v[68:69]
	s_waitcnt vmcnt(2)
	v_mul_f64 v[136:137], v[171:172], v[146:147]
	s_waitcnt vmcnt(1) lgkmcnt(1)
	v_mul_f64 v[148:149], v[175:176], v[191:192]
	s_waitcnt vmcnt(0)
	v_mul_f64 v[114:115], v[187:188], v[112:113]
	v_mul_f64 v[112:113], v[185:186], v[112:113]
	ds_read2_b64 v[68:71], v228 offset0:27 offset1:76
	v_mul_f64 v[118:119], v[163:164], v[116:117]
	s_waitcnt lgkmcnt(1)
	v_mul_f64 v[130:131], v[167:168], v[74:75]
	v_mul_f64 v[154:155], v[173:174], v[191:192]
	;; [unrolled: 1-line block ×3, first 2 shown]
	v_fma_f64 v[136:137], v[24:25], v[169:170], -v[136:137]
	v_fma_f64 v[169:170], v[46:47], v[173:174], -v[148:149]
	v_fma_f64 v[173:174], v[20:21], v[187:188], v[112:113]
	v_mul_f64 v[74:75], v[165:166], v[74:75]
	v_mul_f64 v[112:113], v[161:162], v[116:117]
	s_waitcnt lgkmcnt(0)
	v_mul_f64 v[108:109], v[152:153], v[70:71]
	v_mul_f64 v[70:71], v[150:151], v[70:71]
	v_fma_f64 v[177:178], v[16:17], v[161:162], -v[118:119]
	v_fma_f64 v[130:131], v[34:35], v[165:166], -v[130:131]
	;; [unrolled: 1-line block ×3, first 2 shown]
	v_fma_f64 v[24:25], v[24:25], v[171:172], v[146:147]
	v_fma_f64 v[34:35], v[34:35], v[167:168], v[74:75]
	;; [unrolled: 1-line block ×3, first 2 shown]
	v_lshlrev_b64 v[16:17], 4, v[158:159]
	v_fma_f64 v[70:71], v[42:43], v[152:153], v[70:71]
	v_fma_f64 v[42:43], v[42:43], v[150:151], -v[108:109]
	v_add_co_u32_e32 v150, vcc, s12, v16
	v_addc_co_u32_e32 v151, vcc, v160, v17, vcc
	v_add_co_u32_e32 v16, vcc, s28, v150
	v_addc_co_u32_e32 v17, vcc, 0, v151, vcc
	global_load_dwordx4 v[112:115], v[16:17], off offset:1280
	v_add_co_u32_e32 v146, vcc, s29, v150
	v_addc_co_u32_e32 v147, vcc, 0, v151, vcc
	global_load_dwordx4 v[116:119], v[16:17], off offset:1344
	s_nop 0
	global_load_dwordx4 v[146:149], v[146:147], off offset:16
	v_fma_f64 v[46:47], v[46:47], v[175:176], v[154:155]
	v_add_co_u32_e32 v165, vcc, s13, v150
	v_addc_co_u32_e32 v166, vcc, 0, v151, vcc
	global_load_dwordx4 v[150:153], v[165:166], off offset:48
	global_load_dwordx4 v[161:164], v[165:166], off offset:32
	s_nop 0
	global_load_dwordx4 v[165:168], v[165:166], off offset:16
	v_fma_f64 v[52:53], v[52:53], s[4:5], v[38:39]
	v_fma_f64 v[38:39], v[60:61], s[6:7], -v[38:39]
	v_fma_f64 v[6:7], v[10:11], s[0:1], -v[6:7]
	v_add_f64 v[108:109], v[177:178], -v[130:131]
	v_add_f64 v[154:155], v[136:137], -v[169:170]
	v_add_f64 v[171:172], v[70:71], v[173:174]
	v_add_f64 v[175:176], v[24:25], v[46:47]
	v_fma_f64 v[60:61], v[8:9], s[14:15], v[88:89]
	v_fma_f64 v[88:89], v[2:3], s[14:15], v[102:103]
	v_add_f64 v[52:53], v[52:53], v[26:27]
	v_fma_f64 v[102:103], v[8:9], s[14:15], v[18:19]
	v_add_f64 v[30:31], v[30:31], v[26:27]
	v_add_f64 v[18:19], v[38:39], v[26:27]
	v_fma_f64 v[26:27], v[8:9], s[14:15], v[6:7]
	v_add_f64 v[185:186], v[42:43], -v[20:21]
	v_add_f64 v[16:17], v[108:109], -v[154:155]
	v_add_f64 v[187:188], v[171:172], v[175:176]
	v_add_f64 v[191:192], v[74:75], v[34:35]
	v_add_f64 v[36:37], v[36:37], v[22:23]
	v_add_f64 v[22:23], v[0:1], v[22:23]
	v_fma_f64 v[38:39], v[2:3], s[14:15], v[4:5]
	v_add_f64 v[10:11], v[18:19], -v[26:27]
	v_add_f64 v[193:194], v[185:186], -v[108:109]
	v_mul_f64 v[200:201], v[16:17], s[18:19]
	v_add_f64 v[42:43], v[42:43], v[20:21]
	v_add_f64 v[136:137], v[136:137], v[169:170]
	;; [unrolled: 1-line block ×6, first 2 shown]
	v_add_f64 v[16:17], v[22:23], -v[38:39]
	ds_read_b64 v[38:39], v203
	v_fma_f64 v[64:65], v[2:3], s[14:15], v[64:65]
	v_add_f64 v[6:7], v[102:103], v[30:31]
	v_add_f64 v[22:23], v[30:31], -v[102:103]
	v_fma_f64 v[30:31], v[193:194], s[24:25], v[200:201]
	v_add_f64 v[102:103], v[42:43], v[136:137]
	v_add_f64 v[108:109], v[177:178], v[130:131]
	v_add_f64 v[130:131], v[185:186], v[20:21]
	s_waitcnt lgkmcnt(0)
	v_add_f64 v[38:39], v[38:39], v[26:27]
	v_add_f64 v[4:5], v[36:37], -v[64:65]
	v_add_f64 v[34:35], v[74:75], -v[34:35]
	;; [unrolled: 1-line block ×3, first 2 shown]
	v_add_f64 v[20:21], v[64:65], v[36:37]
	v_add_f64 v[36:37], v[191:192], -v[175:176]
	v_add_f64 v[46:47], v[108:109], v[102:103]
	v_fma_f64 v[64:65], v[130:131], s[14:15], v[30:31]
	v_add_f64 v[30:31], v[108:109], -v[136:137]
	v_fma_f64 v[74:75], v[26:27], s[20:21], v[38:39]
	v_add_f64 v[26:27], v[70:71], -v[173:174]
	v_add_f64 v[102:103], v[171:172], -v[191:192]
	;; [unrolled: 1-line block ×3, first 2 shown]
	v_mul_f64 v[169:170], v[36:37], s[16:17]
	v_add_f64 v[36:37], v[28:29], v[46:47]
	v_add_f64 v[28:29], v[42:43], -v[108:109]
	v_mul_f64 v[108:109], v[30:31], s[16:17]
	v_add_f64 v[171:172], v[175:176], -v[171:172]
	v_add_f64 v[187:188], v[24:25], -v[26:27]
	;; [unrolled: 1-line block ×3, first 2 shown]
	v_mul_f64 v[30:31], v[102:103], s[4:5]
	v_add_f64 v[42:43], v[136:137], -v[42:43]
	v_fma_f64 v[46:47], v[46:47], s[20:21], v[36:37]
	v_add_f64 v[154:155], v[154:155], -v[185:186]
	v_fma_f64 v[177:178], v[28:29], s[4:5], v[108:109]
	v_mul_f64 v[28:29], v[28:29], s[4:5]
	v_mul_f64 v[136:137], v[187:188], s[0:1]
	;; [unrolled: 1-line block ×3, first 2 shown]
	v_add_f64 v[34:35], v[34:35], v[24:25]
	v_add_f64 v[0:1], v[96:97], -v[88:89]
	v_fma_f64 v[102:103], v[102:103], s[4:5], v[169:170]
	v_add_f64 v[24:25], v[88:89], v[96:97]
	v_add_f64 v[208:209], v[177:178], v[46:47]
	v_fma_f64 v[177:178], v[171:172], s[8:9], -v[30:31]
	v_fma_f64 v[88:89], v[42:43], s[8:9], -v[28:29]
	;; [unrolled: 1-line block ×5, first 2 shown]
	s_waitcnt vmcnt(5)
	v_mul_f64 v[108:109], v[114:115], v[68:69]
	v_mul_f64 v[185:186], v[154:155], s[0:1]
	v_fma_f64 v[175:176], v[173:174], s[24:25], v[70:71]
	v_add_f64 v[191:192], v[26:27], v[34:35]
	ds_read2_b64 v[169:172], v248 offset0:157 offset1:206
	v_add_f64 v[2:3], v[60:61], v[52:53]
	v_add_f64 v[102:103], v[102:103], v[74:75]
	v_add_f64 v[26:27], v[52:53], -v[60:61]
	v_add_f64 v[60:61], v[177:178], v[74:75]
	v_fma_f64 v[154:155], v[154:155], s[0:1], -v[200:201]
	s_waitcnt vmcnt(3) lgkmcnt(0)
	v_mul_f64 v[177:178], v[148:149], v[171:172]
	v_add_f64 v[74:75], v[136:137], v[74:75]
	v_add_f64 v[136:137], v[42:43], v[46:47]
	v_fma_f64 v[42:43], v[187:188], s[0:1], -v[70:71]
	v_fma_f64 v[70:71], v[40:41], v[112:113], -v[108:109]
	v_mul_f64 v[200:201], v[118:119], v[189:190]
	v_mul_f64 v[68:69], v[112:113], v[68:69]
	;; [unrolled: 1-line block ×3, first 2 shown]
	v_fma_f64 v[34:35], v[193:194], s[22:23], -v[185:186]
	v_fma_f64 v[193:194], v[191:192], s[14:15], v[175:176]
	ds_read2_b64 v[173:176], v255 offset0:111 offset1:160
	v_add_f64 v[88:89], v[88:89], v[46:47]
	v_fma_f64 v[108:109], v[122:123], v[146:147], -v[177:178]
	v_mul_f64 v[146:147], v[146:147], v[171:172]
	v_fma_f64 v[116:117], v[44:45], v[116:117], -v[200:201]
	s_waitcnt vmcnt(2) lgkmcnt(0)
	v_mul_f64 v[46:47], v[152:153], v[175:176]
	v_fma_f64 v[112:113], v[44:45], v[118:119], v[112:113]
	v_mul_f64 v[44:45], v[150:151], v[175:176]
	ds_read2_b64 v[185:188], v215 offset0:65 offset1:114
	v_mul_i32_i24_e32 v158, 6, v207
	v_lshlrev_b64 v[118:119], 4, v[158:159]
	v_fma_f64 v[52:53], v[130:131], s[14:15], v[34:35]
	v_add_co_u32_e32 v158, vcc, s12, v118
	v_addc_co_u32_e32 v179, vcc, v160, v119, vcc
	v_fma_f64 v[130:131], v[130:131], s[14:15], v[154:155]
	s_waitcnt vmcnt(1)
	v_mul_f64 v[154:155], v[163:164], v[72:73]
	s_waitcnt vmcnt(0) lgkmcnt(0)
	v_mul_f64 v[177:178], v[167:168], v[187:188]
	v_mul_f64 v[171:172], v[165:166], v[187:188]
	v_fma_f64 v[114:115], v[40:41], v[114:115], v[68:69]
	v_mul_f64 v[40:41], v[161:162], v[72:73]
	v_add_co_u32_e32 v118, vcc, s13, v158
	v_addc_co_u32_e32 v119, vcc, 0, v179, vcc
	ds_read_b64 v[202:203], v202
	v_fma_f64 v[214:215], v[82:83], v[150:151], -v[46:47]
	v_fma_f64 v[122:123], v[122:123], v[148:149], v[146:147]
	v_fma_f64 v[82:83], v[82:83], v[152:153], v[44:45]
	global_load_dwordx4 v[146:149], v[118:119], off offset:32
	global_load_dwordx4 v[150:153], v[118:119], off offset:16
	v_add_co_u32_e32 v175, vcc, s28, v158
	v_addc_co_u32_e32 v176, vcc, 0, v179, vcc
	v_fma_f64 v[154:155], v[32:33], v[161:162], -v[154:155]
	v_fma_f64 v[216:217], v[126:127], v[165:166], -v[177:178]
	v_fma_f64 v[126:127], v[126:127], v[167:168], v[171:172]
	v_fma_f64 v[220:221], v[32:33], v[163:164], v[40:41]
	global_load_dwordx4 v[161:164], v[175:176], off offset:1280
	global_load_dwordx4 v[165:168], v[118:119], off offset:48
	s_nop 0
	global_load_dwordx4 v[175:178], v[175:176], off offset:1344
	v_add_co_u32_e32 v118, vcc, s29, v158
	v_addc_co_u32_e32 v119, vcc, 0, v179, vcc
	global_load_dwordx4 v[187:190], v[118:119], off offset:16
	v_fma_f64 v[96:97], v[191:192], s[14:15], v[96:97]
	v_fma_f64 v[68:69], v[191:192], s[14:15], v[42:43]
	v_add_f64 v[72:73], v[214:215], -v[154:155]
	v_add_f64 v[191:192], v[216:217], -v[116:117]
	v_add_f64 v[200:201], v[114:115], v[122:123]
	v_add_f64 v[218:219], v[126:127], v[112:113]
	v_add_f64 v[42:43], v[74:75], -v[130:131]
	v_add_f64 v[46:47], v[130:131], v[74:75]
	v_add_f64 v[222:223], v[82:83], v[220:221]
	v_add_f64 v[171:172], v[70:71], -v[108:109]
	v_add_f64 v[40:41], v[68:69], v[136:137]
	v_add_f64 v[44:45], v[72:73], -v[191:192]
	v_add_f64 v[108:109], v[70:71], v[108:109]
	v_add_f64 v[74:75], v[200:201], v[218:219]
	v_add_f64 v[32:33], v[88:89], -v[96:97]
	v_add_f64 v[112:113], v[126:127], -v[112:113]
	v_add_f64 v[30:31], v[64:65], v[102:103]
	v_add_f64 v[114:115], v[114:115], -v[122:123]
	v_add_f64 v[130:131], v[171:172], -v[72:73]
	v_mul_f64 v[224:225], v[44:45], s[18:19]
	v_add_f64 v[44:45], v[136:137], -v[68:69]
	v_add_f64 v[226:227], v[222:223], v[74:75]
	v_add_f64 v[68:69], v[222:223], -v[218:219]
	v_add_f64 v[136:137], v[216:217], v[116:117]
	v_add_f64 v[116:117], v[200:201], -v[222:223]
	v_add_f64 v[74:75], v[102:103], -v[64:65]
	;; [unrolled: 1-line block ×3, first 2 shown]
	v_add_f64 v[72:73], v[72:73], v[191:192]
	v_add_f64 v[28:29], v[208:209], -v[193:194]
	s_waitcnt lgkmcnt(0)
	v_add_f64 v[118:119], v[202:203], v[226:227]
	v_mul_f64 v[202:203], v[68:69], s[16:17]
	v_add_f64 v[68:69], v[96:97], v[88:89]
	v_add_f64 v[88:89], v[108:109], v[136:137]
	;; [unrolled: 1-line block ×3, first 2 shown]
	v_mul_f64 v[122:123], v[116:117], s[4:5]
	v_add_f64 v[154:155], v[191:192], -v[171:172]
	v_add_f64 v[34:35], v[52:53], v[60:61]
	v_fma_f64 v[64:65], v[226:227], s[20:21], v[118:119]
	v_fma_f64 v[102:103], v[116:117], s[4:5], v[202:203]
	v_add_f64 v[70:71], v[60:61], -v[52:53]
	v_add_f64 v[60:61], v[171:172], v[72:73]
	v_add_f64 v[88:89], v[96:97], v[88:89]
	v_add_f64 v[126:127], v[108:109], -v[96:97]
	v_add_f64 v[96:97], v[96:97], -v[136:137]
	v_fma_f64 v[122:123], v[200:201], s[8:9], -v[122:123]
	v_add_f64 v[72:73], v[193:194], v[208:209]
	v_add_f64 v[82:83], v[82:83], -v[220:221]
	v_mul_f64 v[193:194], v[154:155], s[0:1]
	v_fma_f64 v[52:53], v[130:131], s[24:25], v[224:225]
	v_add_f64 v[116:117], v[100:101], v[88:89]
	v_mul_f64 v[100:101], v[126:127], s[4:5]
	v_mul_f64 v[96:97], v[96:97], s[16:17]
	v_add_f64 v[207:208], v[122:123], v[64:65]
	v_add_f64 v[220:221], v[102:103], v[64:65]
	v_add_f64 v[102:103], v[82:83], -v[112:113]
	v_add_f64 v[171:172], v[112:113], -v[114:115]
	v_fma_f64 v[130:131], v[130:131], s[22:23], -v[193:194]
	v_fma_f64 v[88:89], v[88:89], s[20:21], v[116:117]
	v_fma_f64 v[154:155], v[154:155], s[0:1], -v[224:225]
	v_fma_f64 v[126:127], v[126:127], s[4:5], v[96:97]
	v_fma_f64 v[52:53], v[60:61], s[14:15], v[52:53]
	v_add_f64 v[191:192], v[114:115], -v[82:83]
	v_mul_f64 v[102:103], v[102:103], s[18:19]
	v_add_f64 v[82:83], v[82:83], v[112:113]
	v_add_f64 v[108:109], v[136:137], -v[108:109]
	s_waitcnt vmcnt(4)
	v_mul_f64 v[122:123], v[152:153], v[185:186]
	v_mul_f64 v[112:113], v[171:172], s[0:1]
	v_add_f64 v[222:223], v[126:127], v[88:89]
	v_mul_f64 v[126:127], v[150:151], v[185:186]
	v_fma_f64 v[130:131], v[60:61], s[14:15], v[130:131]
	v_fma_f64 v[60:61], v[60:61], s[14:15], v[154:155]
	;; [unrolled: 1-line block ×3, first 2 shown]
	v_add_f64 v[114:115], v[114:115], v[82:83]
	v_fma_f64 v[150:151], v[124:125], v[150:151], -v[122:123]
	s_waitcnt vmcnt(2)
	v_mul_f64 v[154:155], v[167:168], v[173:174]
	v_fma_f64 v[82:83], v[108:109], s[8:9], -v[100:101]
	v_fma_f64 v[152:153], v[124:125], v[152:153], v[126:127]
	v_fma_f64 v[100:101], v[191:192], s[22:23], -v[112:113]
	v_fma_f64 v[112:113], v[200:201], s[6:7], -v[202:203]
	s_waitcnt vmcnt(0)
	v_mul_f64 v[124:125], v[187:188], v[169:170]
	v_mul_f64 v[169:170], v[189:190], v[169:170]
	ds_read2_b64 v[191:194], v212 offset0:103 offset1:152
	ds_read2_b64 v[200:203], v213 offset0:21 offset1:70
	;; [unrolled: 1-line block ×3, first 2 shown]
	v_fma_f64 v[154:155], v[80:81], v[165:166], -v[154:155]
	v_fma_f64 v[102:103], v[171:172], s[0:1], -v[102:103]
	;; [unrolled: 1-line block ×3, first 2 shown]
	s_waitcnt lgkmcnt(2)
	v_mul_f64 v[171:172], v[148:149], v[193:194]
	v_fma_f64 v[189:190], v[120:121], v[189:190], v[124:125]
	v_mul_f64 v[124:125], v[165:166], v[173:174]
	s_waitcnt lgkmcnt(1)
	v_mul_f64 v[122:123], v[177:178], v[202:203]
	s_waitcnt lgkmcnt(0)
	v_mul_f64 v[126:127], v[161:162], v[215:216]
	v_mul_f64 v[185:186], v[175:176], v[202:203]
	v_mul_f64 v[202:203], v[163:164], v[215:216]
	v_add_f64 v[64:65], v[112:113], v[64:65]
	v_fma_f64 v[215:216], v[134:135], v[146:147], -v[171:172]
	v_add_f64 v[108:109], v[82:83], v[88:89]
	v_fma_f64 v[80:81], v[80:81], v[167:168], v[124:125]
	buffer_load_dword v124, off, s[36:39], 0 offset:32 ; 4-byte Folded Reload
	v_fma_f64 v[171:172], v[140:141], v[175:176], -v[122:123]
	v_fma_f64 v[224:225], v[144:145], v[163:164], v[126:127]
	v_mul_f64 v[122:123], v[146:147], v[193:194]
	v_fma_f64 v[144:145], v[144:145], v[161:162], -v[202:203]
	v_fma_f64 v[146:147], v[120:121], v[187:188], -v[169:170]
	v_fma_f64 v[217:218], v[114:115], s[14:15], v[100:101]
	v_add_f64 v[88:89], v[96:97], v[88:89]
	v_fma_f64 v[96:97], v[114:115], s[14:15], v[102:103]
	v_fma_f64 v[136:137], v[114:115], s[14:15], v[136:137]
	v_add_f64 v[114:115], v[64:65], -v[60:61]
	v_add_f64 v[193:194], v[150:151], -v[171:172]
	v_fma_f64 v[134:135], v[134:135], v[148:149], v[122:123]
	v_add_f64 v[122:123], v[60:61], v[64:65]
	v_add_f64 v[60:61], v[144:145], -v[146:147]
	v_add_f64 v[144:145], v[144:145], v[146:147]
	v_add_f64 v[146:147], v[150:151], v[171:172]
	v_fma_f64 v[140:141], v[140:141], v[177:178], v[185:186]
	v_add_f64 v[102:103], v[130:131], v[207:208]
	v_add_f64 v[126:127], v[207:208], -v[130:131]
	v_add_f64 v[202:203], v[224:225], v[189:190]
	v_add_f64 v[112:113], v[96:97], v[88:89]
	v_add_f64 v[120:121], v[88:89], -v[96:97]
	v_add_f64 v[130:131], v[80:81], v[134:135]
	v_add_f64 v[177:178], v[154:155], -v[215:216]
	;; [unrolled: 2-line block ×3, first 2 shown]
	v_add_f64 v[134:135], v[152:153], -v[140:141]
	v_add_f64 v[100:101], v[108:109], -v[217:218]
	v_add_f64 v[82:83], v[52:53], v[220:221]
	v_add_f64 v[88:89], v[177:178], v[193:194]
	;; [unrolled: 1-line block ×3, first 2 shown]
	v_add_f64 v[64:65], v[177:178], -v[193:194]
	v_add_f64 v[152:153], v[130:131], -v[226:227]
	v_add_f64 v[88:89], v[60:61], v[88:89]
	v_add_f64 v[96:97], v[130:131], v[96:97]
	v_add_f64 v[130:131], v[202:203], -v[130:131]
	v_mul_f64 v[64:65], v[64:65], s[18:19]
	v_add_f64 v[202:203], v[226:227], -v[202:203]
	s_waitcnt vmcnt(0)
	v_mul_i32_i24_e32 v158, 6, v124
	v_lshlrev_b64 v[124:125], 4, v[158:159]
	v_add_co_u32_e32 v150, vcc, s12, v124
	v_addc_co_u32_e32 v151, vcc, v160, v125, vcc
	v_add_co_u32_e32 v124, vcc, s28, v150
	v_addc_co_u32_e32 v125, vcc, 0, v151, vcc
	global_load_dwordx4 v[161:164], v[124:125], off offset:1280
	global_load_dwordx4 v[165:168], v[124:125], off offset:1344
	v_add_co_u32_e32 v148, vcc, s13, v150
	v_addc_co_u32_e32 v149, vcc, 0, v151, vcc
	v_add_co_u32_e32 v124, vcc, s29, v150
	v_addc_co_u32_e32 v125, vcc, 0, v151, vcc
	global_load_dwordx4 v[169:172], v[124:125], off offset:16
	global_load_dwordx4 v[173:176], v[148:149], off offset:32
	;; [unrolled: 1-line block ×4, first 2 shown]
	v_add_f64 v[150:151], v[144:145], v[146:147]
	v_add_f64 v[148:149], v[154:155], v[215:216]
	ds_read_b64 v[140:141], v249
	v_add_f64 v[124:125], v[217:218], v[108:109]
	v_add_f64 v[108:109], v[60:61], -v[177:178]
	ds_read_b64 v[177:178], v229
	v_add_f64 v[60:61], v[193:194], -v[60:61]
	s_waitcnt lgkmcnt(1)
	v_add_f64 v[154:155], v[140:141], v[96:97]
	v_add_f64 v[140:141], v[224:225], -v[189:190]
	v_add_f64 v[150:151], v[148:149], v[150:151]
	v_add_f64 v[189:190], v[80:81], v[134:135]
	v_mul_f64 v[193:194], v[152:153], s[16:17]
	v_add_f64 v[215:216], v[148:149], -v[146:147]
	v_add_f64 v[148:149], v[144:145], -v[148:149]
	;; [unrolled: 1-line block ×3, first 2 shown]
	v_fma_f64 v[96:97], v[96:97], s[20:21], v[154:155]
	v_add_f64 v[217:218], v[140:141], -v[80:81]
	v_add_f64 v[80:81], v[80:81], -v[134:135]
	;; [unrolled: 1-line block ×3, first 2 shown]
	v_add_f64 v[152:153], v[128:129], v[150:151]
	v_mul_f64 v[128:129], v[60:61], s[0:1]
	v_add_f64 v[189:190], v[140:141], v[189:190]
	v_mul_f64 v[140:141], v[130:131], s[4:5]
	v_fma_f64 v[224:225], v[130:131], s[4:5], v[193:194]
	v_mul_f64 v[215:216], v[215:216], s[16:17]
	v_mul_f64 v[146:147], v[80:81], s[18:19]
	;; [unrolled: 1-line block ×3, first 2 shown]
	v_fma_f64 v[193:194], v[202:203], s[6:7], -v[193:194]
	v_fma_f64 v[128:129], v[108:109], s[22:23], -v[128:129]
	v_fma_f64 v[108:109], v[108:109], s[24:25], v[64:65]
	v_fma_f64 v[140:141], v[202:203], s[8:9], -v[140:141]
	v_mul_f64 v[202:203], v[148:149], s[4:5]
	v_fma_f64 v[60:61], v[60:61], s[0:1], -v[64:65]
	v_fma_f64 v[226:227], v[150:151], s[20:21], v[152:153]
	v_fma_f64 v[150:151], v[217:218], s[22:23], -v[130:131]
	v_fma_f64 v[217:218], v[217:218], s[24:25], v[146:147]
	v_fma_f64 v[148:149], v[148:149], s[4:5], v[215:216]
	v_add_f64 v[130:131], v[220:221], -v[52:53]
	v_fma_f64 v[108:109], v[88:89], s[14:15], v[108:109]
	v_fma_f64 v[52:53], v[144:145], s[8:9], -v[202:203]
	v_fma_f64 v[231:232], v[88:89], s[14:15], v[128:129]
	v_fma_f64 v[60:61], v[88:89], s[14:15], v[60:61]
	v_fma_f64 v[88:89], v[144:145], s[6:7], -v[215:216]
	v_add_f64 v[224:225], v[224:225], v[96:97]
	v_fma_f64 v[228:229], v[189:190], s[14:15], v[217:218]
	v_add_f64 v[140:141], v[140:141], v[96:97]
	v_add_f64 v[96:97], v[193:194], v[96:97]
	v_add_f64 v[80:81], v[222:223], -v[136:137]
	v_add_f64 v[64:65], v[148:149], v[226:227]
	v_add_f64 v[52:53], v[52:53], v[226:227]
	;; [unrolled: 1-line block ×4, first 2 shown]
	v_fma_f64 v[233:234], v[189:190], s[14:15], v[150:151]
	v_fma_f64 v[148:149], v[134:135], s[0:1], -v[146:147]
	v_add_f64 v[146:147], v[231:232], v[140:141]
	v_add_f64 v[150:151], v[96:97], -v[60:61]
	v_add_f64 v[134:135], v[64:65], -v[228:229]
	v_add_f64 v[136:137], v[108:109], v[224:225]
	v_add_f64 v[108:109], v[224:225], -v[108:109]
	v_add_f64 v[144:145], v[52:53], -v[233:234]
	v_fma_f64 v[189:190], v[189:190], s[14:15], v[148:149]
	s_waitcnt vmcnt(5)
	v_mul_f64 v[193:194], v[163:164], v[213:214]
	v_mul_f64 v[217:218], v[161:162], v[213:214]
	ds_read2_b64 v[213:216], v248 offset0:59 offset1:108
	s_waitcnt vmcnt(4)
	v_mul_f64 v[88:89], v[167:168], v[200:201]
	v_mul_f64 v[226:227], v[165:166], v[200:201]
	ds_read2_b64 v[200:203], v250 offset0:95 offset1:144
	v_add_f64 v[148:149], v[189:190], v[221:222]
	v_fma_f64 v[193:194], v[142:143], v[161:162], -v[193:194]
	v_fma_f64 v[142:143], v[142:143], v[163:164], v[217:218]
	s_waitcnt vmcnt(3) lgkmcnt(1)
	v_mul_f64 v[161:162], v[169:170], v[215:216]
	s_waitcnt vmcnt(1) lgkmcnt(0)
	v_mul_f64 v[163:164], v[185:186], v[202:203]
	ds_read2_b64 v[217:220], v205 offset0:141 offset1:190
	v_fma_f64 v[165:166], v[138:139], v[165:166], -v[88:89]
	v_fma_f64 v[138:139], v[138:139], v[167:168], v[226:227]
	v_mul_f64 v[167:168], v[175:176], v[191:192]
	v_mul_f64 v[202:203], v[187:188], v[202:203]
	s_waitcnt vmcnt(0) lgkmcnt(0)
	v_mul_f64 v[88:89], v[208:209], v[219:220]
	v_fma_f64 v[226:227], v[106:107], v[171:172], v[161:162]
	v_fma_f64 v[235:236], v[94:95], v[187:188], v[163:164]
	v_mul_f64 v[161:162], v[173:174], v[191:192]
	v_mul_f64 v[163:164], v[206:207], v[219:220]
	;; [unrolled: 1-line block ×3, first 2 shown]
	v_fma_f64 v[167:168], v[132:133], v[173:174], -v[167:168]
	v_fma_f64 v[94:95], v[94:95], v[185:186], -v[202:203]
	;; [unrolled: 1-line block ×3, first 2 shown]
	v_add_f64 v[173:174], v[142:143], v[226:227]
	v_add_f64 v[202:203], v[235:236], v[138:139]
	v_fma_f64 v[132:133], v[132:133], v[175:176], v[161:162]
	v_fma_f64 v[175:176], v[86:87], v[208:209], v[163:164]
	buffer_load_dword v86, off, s[36:39], 0 offset:44 ; 4-byte Folded Reload
	v_fma_f64 v[106:107], v[106:107], v[169:170], -v[171:172]
	v_add_f64 v[88:89], v[60:61], v[96:97]
	v_add_f64 v[169:170], v[94:95], -v[165:166]
	v_add_f64 v[96:97], v[140:141], -v[231:232]
	v_add_f64 v[140:141], v[173:174], v[202:203]
	v_add_f64 v[165:166], v[94:95], v[165:166]
	;; [unrolled: 1-line block ×3, first 2 shown]
	v_add_f64 v[60:61], v[191:192], -v[167:168]
	v_add_f64 v[205:206], v[193:194], v[106:107]
	v_add_f64 v[94:95], v[233:234], v[52:53]
	v_add_f64 v[52:53], v[193:194], -v[106:107]
	v_add_f64 v[106:107], v[228:229], v[64:65]
	v_add_f64 v[167:168], v[191:192], v[167:168]
	v_add_f64 v[132:133], v[175:176], -v[132:133]
	v_add_f64 v[64:65], v[171:172], v[140:141]
	v_add_f64 v[193:194], v[171:172], -v[202:203]
	;; [unrolled: 2-line block ×3, first 2 shown]
	v_add_f64 v[215:216], v[52:53], -v[60:61]
	v_add_f64 v[173:174], v[202:203], -v[173:174]
	;; [unrolled: 1-line block ×4, first 2 shown]
	v_add_f64 v[140:141], v[177:178], v[64:65]
	v_mul_f64 v[193:194], v[193:194], s[16:17]
	v_add_f64 v[228:229], v[167:168], v[207:208]
	v_add_f64 v[207:208], v[235:236], -v[138:139]
	v_add_f64 v[167:168], v[167:168], -v[165:166]
	;; [unrolled: 1-line block ×3, first 2 shown]
	v_add_f64 v[138:139], v[156:157], v[228:229]
	v_add_f64 v[156:157], v[132:133], v[207:208]
	v_mul_f64 v[167:168], v[167:168], s[16:17]
	v_add_f64 v[156:157], v[142:143], v[156:157]
	s_waitcnt vmcnt(0)
	v_mul_i32_i24_e32 v158, 6, v86
	v_lshlrev_b64 v[86:87], 4, v[158:159]
	v_add_co_u32_e32 v179, vcc, s12, v86
	v_addc_co_u32_e32 v195, vcc, v160, v87, vcc
	v_add_co_u32_e32 v158, vcc, s28, v179
	v_addc_co_u32_e32 v159, vcc, 0, v195, vcc
	;; [unrolled: 2-line block ×3, first 2 shown]
	global_load_dwordx4 v[185:188], v[158:159], off offset:1344
	global_load_dwordx4 v[161:164], v[86:87], off offset:16
	v_add_f64 v[86:87], v[221:222], -v[189:190]
	v_add_f64 v[189:190], v[60:61], -v[169:170]
	v_add_f64 v[60:61], v[60:61], v[169:170]
	v_add_f64 v[169:170], v[169:170], -v[52:53]
	v_add_co_u32_e32 v202, vcc, s13, v179
	v_addc_co_u32_e32 v203, vcc, 0, v195, vcc
	ds_read_b64 v[231:232], v247
	v_mul_f64 v[223:224], v[189:190], s[18:19]
	v_add_f64 v[52:53], v[52:53], v[60:61]
	v_fma_f64 v[60:61], v[64:65], s[20:21], v[140:141]
	v_mul_f64 v[64:65], v[171:172], s[4:5]
	v_mul_f64 v[219:220], v[169:170], s[0:1]
	global_load_dwordx4 v[189:192], v[202:203], off offset:32
	global_load_dwordx4 v[176:179], v[202:203], off offset:16
	v_fma_f64 v[171:172], v[171:172], s[4:5], v[193:194]
	v_add_co_u32_e32 v195, vcc, s12, v184
	v_addc_co_u32_e32 v209, vcc, 0, v160, vcc
	v_fma_f64 v[64:65], v[173:174], s[8:9], -v[64:65]
	v_fma_f64 v[173:174], v[173:174], s[6:7], -v[193:194]
	v_add_f64 v[193:194], v[142:143], -v[132:133]
	v_add_f64 v[132:133], v[132:133], -v[207:208]
	v_fma_f64 v[233:234], v[215:216], s[22:23], -v[219:220]
	v_add_f64 v[142:143], v[207:208], -v[142:143]
	global_load_dwordx4 v[205:208], v[158:159], off offset:1280
	global_load_dwordx4 v[219:222], v[202:203], off offset:48
	v_fma_f64 v[158:159], v[215:216], s[24:25], v[223:224]
	v_add_f64 v[235:236], v[171:172], v[60:61]
	v_add_f64 v[64:65], v[64:65], v[60:61]
	;; [unrolled: 1-line block ×3, first 2 shown]
	v_mul_f64 v[171:172], v[225:226], s[4:5]
	v_mul_f64 v[132:133], v[132:133], s[18:19]
	;; [unrolled: 1-line block ×3, first 2 shown]
	v_fma_f64 v[202:203], v[52:53], s[14:15], v[233:234]
	v_add_co_u32_e32 v233, vcc, s28, v195
	v_addc_co_u32_e32 v234, vcc, 0, v209, vcc
	v_fma_f64 v[237:238], v[52:53], s[14:15], v[158:159]
	v_fma_f64 v[158:159], v[225:226], s[4:5], v[167:168]
	v_fma_f64 v[173:174], v[193:194], s[22:23], -v[173:174]
	v_fma_f64 v[193:194], v[193:194], s[24:25], v[132:133]
	v_fma_f64 v[171:172], v[165:166], s[8:9], -v[171:172]
	v_fma_f64 v[165:166], v[165:166], s[6:7], -v[167:168]
	;; [unrolled: 1-line block ×4, first 2 shown]
	v_fma_f64 v[193:194], v[156:157], s[14:15], v[193:194]
	v_fma_f64 v[132:133], v[156:157], s[14:15], v[132:133]
	;; [unrolled: 1-line block ×4, first 2 shown]
	v_add_f64 v[241:242], v[171:172], v[169:170]
	v_fma_f64 v[172:173], v[156:157], s[14:15], v[173:174]
	v_add_f64 v[174:175], v[165:166], v[169:170]
	v_add_f64 v[239:240], v[158:159], v[169:170]
	;; [unrolled: 1-line block ×4, first 2 shown]
	v_add_f64 v[156:157], v[239:240], -v[193:194]
	s_waitcnt vmcnt(4)
	v_mul_f64 v[142:143], v[163:164], v[213:214]
	v_mul_f64 v[167:168], v[161:162], v[213:214]
	global_load_dwordx4 v[213:216], v[233:234], off offset:1344
	v_fma_f64 v[142:143], v[104:105], v[161:162], -v[142:143]
	v_fma_f64 v[104:105], v[104:105], v[163:164], v[167:168]
	v_add_f64 v[166:167], v[60:61], -v[52:53]
	v_add_f64 v[162:163], v[202:203], v[64:65]
	v_add_f64 v[164:165], v[132:133], v[174:175]
	v_add_f64 v[168:169], v[174:175], -v[132:133]
	v_add_f64 v[174:175], v[64:65], -v[202:203]
	s_waitcnt vmcnt(3)
	v_mul_f64 v[223:224], v[178:179], v[200:201]
	v_mul_f64 v[225:226], v[176:177], v[200:201]
	ds_read2_b64 v[200:203], v212 offset0:5 offset1:54
	v_add_f64 v[160:161], v[241:242], -v[172:173]
	v_add_f64 v[172:173], v[172:173], v[241:242]
	v_fma_f64 v[52:53], v[92:93], v[176:177], -v[223:224]
	v_fma_f64 v[64:65], v[92:93], v[178:179], v[225:226]
	ds_read2_b64 v[223:226], v211 offset0:87 offset1:136
	ds_read2_b64 v[227:230], v230 offset0:179 offset1:228
	s_waitcnt lgkmcnt(2)
	v_mul_f64 v[92:93], v[191:192], v[202:203]
	s_waitcnt vmcnt(1)
	v_mul_f64 v[60:61], v[221:222], v[217:218]
	v_add_f64 v[176:177], v[193:194], v[239:240]
	s_waitcnt lgkmcnt(1)
	v_mul_f64 v[132:133], v[205:206], v[225:226]
	s_waitcnt lgkmcnt(0)
	v_mul_f64 v[211:212], v[185:186], v[229:230]
	v_mul_f64 v[193:194], v[207:208], v[225:226]
	v_add_f64 v[178:179], v[235:236], -v[237:238]
	v_mul_lo_u32 v237, s27, v198
	v_fma_f64 v[92:93], v[50:51], v[189:190], -v[92:93]
	v_fma_f64 v[225:226], v[84:85], v[219:220], -v[60:61]
	v_mul_f64 v[60:61], v[187:188], v[229:230]
	v_fma_f64 v[132:133], v[58:59], v[207:208], v[132:133]
	v_fma_f64 v[207:208], v[78:79], v[187:188], v[211:212]
	v_mul_f64 v[187:188], v[219:220], v[217:218]
	v_mul_f64 v[189:190], v[189:190], v[202:203]
	v_fma_f64 v[193:194], v[58:59], v[205:206], -v[193:194]
	v_add_co_u32_e32 v58, vcc, s29, v195
	v_fma_f64 v[205:206], v[78:79], v[185:186], -v[60:61]
	v_addc_co_u32_e32 v59, vcc, 0, v209, vcc
	v_fma_f64 v[84:85], v[84:85], v[221:222], v[187:188]
	v_add_co_u32_e32 v188, vcc, s13, v195
	v_fma_f64 v[50:51], v[50:51], v[191:192], v[189:190]
	v_addc_co_u32_e32 v189, vcc, 0, v209, vcc
	global_load_dwordx4 v[58:61], v[58:59], off offset:16
	v_add_f64 v[211:212], v[132:133], v[104:105]
	v_add_f64 v[217:218], v[64:65], v[207:208]
	;; [unrolled: 1-line block ×4, first 2 shown]
	v_add_f64 v[142:143], v[193:194], -v[142:143]
	v_add_f64 v[202:203], v[225:226], -v[92:93]
	v_add_f64 v[229:230], v[84:85], v[50:51]
	v_add_f64 v[92:93], v[225:226], v[92:93]
	v_add_f64 v[52:53], v[52:53], -v[205:206]
	v_mul_lo_u32 v209, s26, v199
	v_mad_u64_u32 v[235:236], s[12:13], s26, v198, 0
	v_add_f64 v[225:226], v[219:220], v[221:222]
	v_add_f64 v[50:51], v[84:85], -v[50:51]
	v_add_f64 v[64:65], v[64:65], -v[207:208]
	v_add3_u32 v236, v236, v209, v237
	v_add_f64 v[104:105], v[132:133], -v[104:105]
	v_add_f64 v[132:133], v[229:230], -v[217:218]
	v_add_f64 v[225:226], v[92:93], v[225:226]
	v_mul_f64 v[132:133], v[132:133], s[16:17]
	s_waitcnt vmcnt(1)
	v_mul_f64 v[78:79], v[215:216], v[227:228]
	v_mul_f64 v[184:185], v[213:214], v[227:228]
	v_add_f64 v[227:228], v[211:212], v[217:218]
	v_add_f64 v[205:206], v[182:183], v[225:226]
	v_add_f64 v[182:183], v[142:143], -v[202:203]
	v_fma_f64 v[213:214], v[76:77], v[213:214], -v[78:79]
	v_fma_f64 v[215:216], v[76:77], v[215:216], v[184:185]
	global_load_dwordx4 v[76:79], v[188:189], off offset:32
	global_load_dwordx4 v[184:187], v[188:189], off offset:16
	;; [unrolled: 1-line block ×3, first 2 shown]
	v_add_f64 v[198:199], v[229:230], v[227:228]
	global_load_dwordx4 v[188:191], v[188:189], off offset:48
	v_add_f64 v[227:228], v[202:203], v[52:53]
	ds_read_b64 v[84:85], v210
	v_add_f64 v[202:203], v[202:203], -v[52:53]
	v_add_f64 v[52:53], v[52:53], -v[142:143]
	v_add_f64 v[207:208], v[231:232], v[198:199]
	v_add_f64 v[209:210], v[142:143], v[227:228]
	;; [unrolled: 1-line block ×3, first 2 shown]
	v_add_f64 v[227:228], v[211:212], -v[229:230]
	v_add_f64 v[211:212], v[217:218], -v[211:212]
	;; [unrolled: 1-line block ×5, first 2 shown]
	v_mul_f64 v[202:203], v[202:203], s[18:19]
	v_fma_f64 v[198:199], v[198:199], s[20:21], v[207:208]
	v_add_f64 v[142:143], v[104:105], v[142:143]
	v_mul_f64 v[104:105], v[227:228], s[4:5]
	v_fma_f64 v[227:228], v[227:228], s[4:5], v[132:133]
	v_fma_f64 v[132:133], v[211:212], s[6:7], -v[132:133]
	v_mul_f64 v[229:230], v[50:51], s[18:19]
	v_fma_f64 v[104:105], v[211:212], s[8:9], -v[104:105]
	v_add_f64 v[211:212], v[92:93], -v[221:222]
	v_add_f64 v[92:93], v[219:220], -v[92:93]
	;; [unrolled: 1-line block ×3, first 2 shown]
	v_mul_f64 v[221:222], v[52:53], s[0:1]
	v_fma_f64 v[52:53], v[52:53], s[0:1], -v[202:203]
	v_add_f64 v[227:228], v[227:228], v[198:199]
	v_add_f64 v[132:133], v[132:133], v[198:199]
	;; [unrolled: 1-line block ×3, first 2 shown]
	v_mul_f64 v[211:212], v[211:212], s[16:17]
	v_mul_f64 v[198:199], v[64:65], s[0:1]
	v_fma_f64 v[50:51], v[182:183], s[22:23], -v[221:222]
	v_fma_f64 v[182:183], v[182:183], s[24:25], v[202:203]
	v_fma_f64 v[221:222], v[225:226], s[20:21], v[205:206]
	;; [unrolled: 1-line block ×3, first 2 shown]
	v_mul_f64 v[92:93], v[92:93], s[4:5]
	v_fma_f64 v[211:212], v[219:220], s[6:7], -v[211:212]
	v_fma_f64 v[198:199], v[217:218], s[22:23], -v[198:199]
	v_fma_f64 v[217:218], v[217:218], s[24:25], v[229:230]
	v_fma_f64 v[182:183], v[209:210], s[14:15], v[182:183]
	v_fma_f64 v[225:226], v[209:210], s[14:15], v[50:51]
	v_fma_f64 v[209:210], v[209:210], s[14:15], v[52:53]
	v_add_f64 v[202:203], v[202:203], v[221:222]
	v_fma_f64 v[92:93], v[219:220], s[8:9], -v[92:93]
	v_add_f64 v[211:212], v[211:212], v[221:222]
	v_fma_f64 v[198:199], v[142:143], s[14:15], v[198:199]
	v_fma_f64 v[217:218], v[142:143], s[14:15], v[217:218]
	v_add_f64 v[52:53], v[182:183], v[227:228]
	v_add_f64 v[92:93], v[92:93], v[221:222]
	v_fma_f64 v[221:222], v[64:65], s[0:1], -v[229:230]
	v_add_f64 v[50:51], v[202:203], -v[217:218]
	v_add_f64 v[64:65], v[92:93], -v[198:199]
	v_fma_f64 v[142:143], v[142:143], s[14:15], v[221:222]
	s_waitcnt vmcnt(3)
	v_mul_f64 v[231:232], v[78:79], v[200:201]
	s_waitcnt vmcnt(2)
	v_mul_f64 v[219:220], v[186:187], v[98:99]
	v_mul_f64 v[98:99], v[184:185], v[98:99]
	s_waitcnt vmcnt(0)
	v_mul_f64 v[229:230], v[190:191], v[90:91]
	v_fma_f64 v[231:232], v[48:49], v[76:77], -v[231:232]
	v_fma_f64 v[184:185], v[66:67], v[184:185], -v[219:220]
	v_fma_f64 v[98:99], v[66:67], v[186:187], v[98:99]
	v_mul_f64 v[186:187], v[58:59], v[110:111]
	v_mul_f64 v[219:220], v[192:193], v[223:224]
	;; [unrolled: 1-line block ×4, first 2 shown]
	v_fma_f64 v[229:230], v[54:55], v[188:189], -v[229:230]
	v_add_f64 v[66:67], v[225:226], v[104:105]
	v_fma_f64 v[186:187], v[62:63], v[60:61], v[186:187]
	v_fma_f64 v[194:195], v[56:57], v[194:195], v[219:220]
	v_mul_f64 v[60:61], v[76:77], v[200:201]
	v_mul_f64 v[76:77], v[188:189], v[90:91]
	v_fma_f64 v[90:91], v[56:57], v[192:193], -v[223:224]
	v_fma_f64 v[62:63], v[62:63], v[58:59], -v[110:111]
	v_add_f64 v[110:111], v[229:230], -v[231:232]
	v_add_f64 v[188:189], v[184:185], -v[213:214]
	v_add_f64 v[200:201], v[98:99], v[215:216]
	v_add_f64 v[192:193], v[194:195], v[186:187]
	v_fma_f64 v[48:49], v[48:49], v[78:79], v[60:61]
	v_fma_f64 v[190:191], v[54:55], v[190:191], v[76:77]
	v_add_f64 v[56:57], v[132:133], -v[209:210]
	v_add_f64 v[60:61], v[209:210], v[132:133]
	v_add_f64 v[132:133], v[90:91], -v[62:63]
	v_add_f64 v[76:77], v[110:111], -v[188:189]
	v_add_f64 v[62:63], v[90:91], v[62:63]
	v_add_f64 v[184:185], v[184:185], v[213:214]
	;; [unrolled: 1-line block ×3, first 2 shown]
	v_add_f64 v[58:59], v[211:212], -v[142:143]
	v_add_f64 v[142:143], v[192:193], v[200:201]
	v_add_f64 v[209:210], v[190:191], v[48:49]
	;; [unrolled: 1-line block ×3, first 2 shown]
	v_mul_f64 v[211:212], v[76:77], s[18:19]
	v_add_f64 v[76:77], v[198:199], v[92:93]
	v_add_f64 v[198:199], v[62:63], v[184:185]
	;; [unrolled: 1-line block ×3, first 2 shown]
	v_add_f64 v[48:49], v[190:191], -v[48:49]
	v_add_f64 v[98:99], v[98:99], -v[215:216]
	;; [unrolled: 1-line block ×3, first 2 shown]
	v_add_f64 v[142:143], v[209:210], v[142:143]
	v_add_f64 v[78:79], v[104:105], -v[225:226]
	v_add_f64 v[104:105], v[132:133], -v[110:111]
	v_add_f64 v[110:111], v[110:111], v[188:189]
	v_add_f64 v[198:199], v[202:203], v[198:199]
	v_add_f64 v[92:93], v[227:228], -v[182:183]
	v_add_f64 v[194:195], v[48:49], -v[98:99]
	;; [unrolled: 1-line block ×3, first 2 shown]
	v_add_f64 v[48:49], v[48:49], v[98:99]
	v_add_f64 v[98:99], v[98:99], -v[186:187]
	s_waitcnt lgkmcnt(0)
	v_add_f64 v[182:183], v[84:85], v[142:143]
	v_add_f64 v[84:85], v[192:193], -v[209:210]
	v_add_f64 v[190:191], v[209:210], -v[200:201]
	;; [unrolled: 1-line block ×3, first 2 shown]
	v_add_f64 v[180:181], v[180:181], v[198:199]
	v_add_f64 v[202:203], v[62:63], -v[202:203]
	v_add_f64 v[110:111], v[132:133], v[110:111]
	v_add_f64 v[132:133], v[188:189], -v[132:133]
	v_mul_f64 v[194:195], v[194:195], s[18:19]
	v_add_f64 v[62:63], v[184:185], -v[62:63]
	v_mul_f64 v[184:185], v[98:99], s[0:1]
	v_mul_f64 v[209:210], v[209:210], s[16:17]
	v_fma_f64 v[188:189], v[198:199], s[20:21], v[180:181]
	v_mul_f64 v[198:199], v[202:203], s[4:5]
	v_add_f64 v[48:49], v[186:187], v[48:49]
	v_mul_f64 v[186:187], v[132:133], s[0:1]
	v_fma_f64 v[219:220], v[217:218], s[24:25], v[194:195]
	v_fma_f64 v[98:99], v[98:99], s[0:1], -v[194:195]
	v_fma_f64 v[184:185], v[217:218], s[22:23], -v[184:185]
	v_mul_f64 v[215:216], v[84:85], s[4:5]
	v_mul_f64 v[190:191], v[190:191], s[16:17]
	v_add_f64 v[192:193], v[200:201], -v[192:193]
	v_fma_f64 v[198:199], v[62:63], s[8:9], -v[198:199]
	v_fma_f64 v[62:63], v[62:63], s[6:7], -v[209:210]
	v_fma_f64 v[213:214], v[104:105], s[24:25], v[211:212]
	v_fma_f64 v[104:105], v[104:105], s[22:23], -v[186:187]
	v_fma_f64 v[132:133], v[132:133], s[0:1], -v[211:212]
	s_mov_b32 s0, 0xbf112a8b
	v_fma_f64 v[219:220], v[48:49], s[14:15], v[219:220]
	v_fma_f64 v[217:218], v[48:49], s[14:15], v[184:185]
	;; [unrolled: 1-line block ×3, first 2 shown]
	v_mul_hi_u32 v98, v204, s0
	v_fma_f64 v[142:143], v[142:143], s[20:21], v[182:183]
	v_fma_f64 v[84:85], v[84:85], s[4:5], v[190:191]
	v_fma_f64 v[186:187], v[192:193], s[8:9], -v[215:216]
	v_add_f64 v[62:63], v[62:63], v[188:189]
	v_lshrrev_b32_e32 v98, 8, v98
	v_mul_u32_u24_e32 v98, 0x157, v98
	v_fma_f64 v[213:214], v[110:111], s[14:15], v[213:214]
	v_fma_f64 v[104:105], v[110:111], s[14:15], v[104:105]
	;; [unrolled: 1-line block ×3, first 2 shown]
	v_sub_u32_e32 v132, v204, v98
	v_fma_f64 v[202:203], v[202:203], s[4:5], v[209:210]
	v_mad_u64_u32 v[98:99], s[4:5], s2, v132, 0
	v_add_f64 v[84:85], v[84:85], v[142:143]
	v_fma_f64 v[190:191], v[192:193], s[6:7], -v[190:191]
	v_add_f64 v[209:210], v[186:187], v[142:143]
	v_add_f64 v[215:216], v[198:199], v[188:189]
	v_add_f64 v[192:193], v[48:49], v[62:63]
	v_add_f64 v[198:199], v[62:63], -v[48:49]
	v_mov_b32_e32 v48, v99
	v_mad_u64_u32 v[48:49], s[4:5], s3, v132, v[48:49]
	v_add_f64 v[202:203], v[202:203], v[188:189]
	v_add_f64 v[142:143], v[190:191], v[142:143]
	v_mov_b32_e32 v99, v48
	v_lshlrev_b64 v[48:49], 4, v[235:236]
	v_add_f64 v[186:187], v[213:214], v[84:85]
	v_add_f64 v[190:191], v[104:105], v[209:210]
	v_add_f64 v[188:189], v[215:216], -v[217:218]
	v_add_f64 v[211:212], v[209:210], -v[104:105]
	v_add_f64 v[209:210], v[217:218], v[215:216]
	v_add_f64 v[215:216], v[84:85], -v[213:214]
	v_mov_b32_e32 v62, s11
	v_add_co_u32_e32 v84, vcc, s10, v48
	v_add_u32_e32 v104, 0x157, v132
	v_addc_co_u32_e32 v85, vcc, v62, v49, vcc
	v_mad_u64_u32 v[62:63], s[4:5], s2, v104, 0
	v_lshlrev_b64 v[48:49], 4, v[196:197]
	v_add_f64 v[213:214], v[219:220], v[202:203]
	v_add_co_u32_e32 v48, vcc, v84, v48
	v_addc_co_u32_e32 v49, vcc, v85, v49, vcc
	v_lshlrev_b64 v[84:85], 4, v[98:99]
	v_mad_u64_u32 v[98:99], s[4:5], s3, v104, v[63:64]
	v_add_co_u32_e32 v84, vcc, v48, v84
	v_addc_co_u32_e32 v85, vcc, v49, v85, vcc
	v_mov_b32_e32 v63, v98
	v_add_u32_e32 v98, 0x2ae, v132
	global_store_dwordx4 v[84:85], v[180:183], off
	v_mad_u64_u32 v[84:85], s[4:5], s2, v98, 0
	v_lshlrev_b64 v[62:63], 4, v[62:63]
	v_add_f64 v[200:201], v[110:111], v[142:143]
	v_mad_u64_u32 v[98:99], s[4:5], s3, v98, v[85:86]
	v_add_u32_e32 v99, 0x405, v132
	v_mad_u64_u32 v[104:105], s[4:5], s2, v99, 0
	v_add_co_u32_e32 v62, vcc, v48, v62
	v_addc_co_u32_e32 v63, vcc, v49, v63, vcc
	v_mov_b32_e32 v85, v98
	global_store_dwordx4 v[62:63], v[213:216], off
	v_lshlrev_b64 v[62:63], 4, v[84:85]
	v_mov_b32_e32 v84, v105
	v_mad_u64_u32 v[84:85], s[4:5], s3, v99, v[84:85]
	v_add_u32_e32 v98, 0x55c, v132
	v_add_co_u32_e32 v62, vcc, v48, v62
	v_mov_b32_e32 v105, v84
	v_mad_u64_u32 v[84:85], s[4:5], s2, v98, 0
	v_addc_co_u32_e32 v63, vcc, v49, v63, vcc
	v_mad_u64_u32 v[98:99], s[4:5], s3, v98, v[85:86]
	v_add_u32_e32 v99, 0x6b3, v132
	global_store_dwordx4 v[62:63], v[209:212], off
	v_lshlrev_b64 v[62:63], 4, v[104:105]
	v_mad_u64_u32 v[104:105], s[4:5], s2, v99, 0
	v_add_co_u32_e32 v62, vcc, v48, v62
	v_addc_co_u32_e32 v63, vcc, v49, v63, vcc
	v_mov_b32_e32 v85, v98
	global_store_dwordx4 v[62:63], v[198:201], off
	v_lshlrev_b64 v[62:63], 4, v[84:85]
	v_mov_b32_e32 v84, v105
	v_mad_u64_u32 v[84:85], s[4:5], s3, v99, v[84:85]
	v_add_f64 v[194:195], v[142:143], -v[110:111]
	v_add_u32_e32 v98, 0x80a, v132
	v_mov_b32_e32 v105, v84
	v_mad_u64_u32 v[84:85], s[4:5], s2, v98, 0
	v_add_co_u32_e32 v62, vcc, v48, v62
	v_mad_u64_u32 v[98:99], s[4:5], s3, v98, v[85:86]
	v_addc_co_u32_e32 v63, vcc, v49, v63, vcc
	v_add_u32_e32 v99, 49, v204
	global_store_dwordx4 v[62:63], v[192:195], off
	v_lshlrev_b64 v[62:63], 4, v[104:105]
	v_mul_hi_u32 v104, v99, s0
	v_add_co_u32_e32 v62, vcc, v48, v62
	v_addc_co_u32_e32 v63, vcc, v49, v63, vcc
	v_mov_b32_e32 v85, v98
	global_store_dwordx4 v[62:63], v[188:191], off
	v_lshlrev_b64 v[62:63], 4, v[84:85]
	v_lshrrev_b32_e32 v84, 8, v104
	v_mul_u32_u24_e32 v85, 0x157, v84
	v_sub_u32_e32 v85, v99, v85
	s_movk_i32 s1, 0x961
	v_mad_u32_u24 v110, v84, s1, v85
	v_mad_u64_u32 v[84:85], s[4:5], s2, v110, 0
	v_add_f64 v[184:185], v[202:203], -v[219:220]
	v_add_co_u32_e32 v62, vcc, v48, v62
	v_mad_u64_u32 v[98:99], s[4:5], s3, v110, v[85:86]
	v_add_u32_e32 v99, 0x157, v110
	v_mad_u64_u32 v[104:105], s[4:5], s2, v99, 0
	v_addc_co_u32_e32 v63, vcc, v49, v63, vcc
	v_mov_b32_e32 v85, v98
	global_store_dwordx4 v[62:63], v[184:187], off
	v_lshlrev_b64 v[62:63], 4, v[84:85]
	v_mov_b32_e32 v84, v105
	v_mad_u64_u32 v[84:85], s[4:5], s3, v99, v[84:85]
	v_add_u32_e32 v98, 0x2ae, v110
	v_add_co_u32_e32 v62, vcc, v48, v62
	v_mov_b32_e32 v105, v84
	v_mad_u64_u32 v[84:85], s[4:5], s2, v98, 0
	v_addc_co_u32_e32 v63, vcc, v49, v63, vcc
	v_mad_u64_u32 v[98:99], s[4:5], s3, v98, v[85:86]
	global_store_dwordx4 v[62:63], v[205:208], off
	v_lshlrev_b64 v[62:63], 4, v[104:105]
	v_add_u32_e32 v99, 0x405, v110
	v_add_co_u32_e32 v62, vcc, v48, v62
	v_addc_co_u32_e32 v63, vcc, v49, v63, vcc
	v_mad_u64_u32 v[104:105], s[4:5], s2, v99, 0
	v_mov_b32_e32 v85, v98
	global_store_dwordx4 v[62:63], v[90:93], off
	v_lshlrev_b64 v[62:63], 4, v[84:85]
	v_mov_b32_e32 v84, v105
	v_add_co_u32_e32 v62, vcc, v48, v62
	v_addc_co_u32_e32 v63, vcc, v49, v63, vcc
	v_mad_u64_u32 v[84:85], s[4:5], s3, v99, v[84:85]
	global_store_dwordx4 v[62:63], v[76:79], off
	v_mov_b32_e32 v105, v84
	v_add_u32_e32 v78, 0x55c, v110
	v_mad_u64_u32 v[76:77], s[4:5], s2, v78, 0
	v_lshlrev_b64 v[62:63], 4, v[104:105]
	v_add_u32_e32 v84, 0x6b3, v110
	v_mad_u64_u32 v[77:78], s[4:5], s3, v78, v[77:78]
	v_add_co_u32_e32 v62, vcc, v48, v62
	v_addc_co_u32_e32 v63, vcc, v49, v63, vcc
	global_store_dwordx4 v[62:63], v[58:61], off
	v_mad_u64_u32 v[78:79], s[4:5], s2, v84, 0
	v_lshlrev_b64 v[58:59], 4, v[76:77]
	v_add_co_u32_e32 v58, vcc, v48, v58
	v_addc_co_u32_e32 v59, vcc, v49, v59, vcc
	global_store_dwordx4 v[58:59], v[54:57], off
	v_add_u32_e32 v58, 0x80a, v110
	v_mov_b32_e32 v60, v79
	v_mad_u64_u32 v[56:57], s[4:5], s2, v58, 0
	v_mad_u64_u32 v[60:61], s[4:5], s3, v84, v[60:61]
	;; [unrolled: 1-line block ×3, first 2 shown]
	v_mov_b32_e32 v79, v60
	v_add_u32_e32 v58, 0x62, v204
	v_lshlrev_b64 v[54:55], 4, v[78:79]
	v_mul_hi_u32 v59, v58, s0
	v_add_co_u32_e32 v54, vcc, v48, v54
	v_addc_co_u32_e32 v55, vcc, v49, v55, vcc
	global_store_dwordx4 v[54:55], v[64:67], off
	v_lshlrev_b64 v[54:55], 4, v[56:57]
	v_lshrrev_b32_e32 v56, 8, v59
	v_mul_u32_u24_e32 v57, 0x157, v56
	v_sub_u32_e32 v57, v58, v57
	v_mad_u32_u24 v60, v56, s1, v57
	v_mad_u64_u32 v[56:57], s[4:5], s2, v60, 0
	v_add_u32_e32 v61, 0x157, v60
	v_add_co_u32_e32 v54, vcc, v48, v54
	v_mad_u64_u32 v[57:58], s[4:5], s3, v60, v[57:58]
	v_mad_u64_u32 v[58:59], s[4:5], s2, v61, 0
	v_addc_co_u32_e32 v55, vcc, v49, v55, vcc
	global_store_dwordx4 v[54:55], v[50:53], off
	v_add_u32_e32 v54, 0x2ae, v60
	v_mov_b32_e32 v52, v59
	v_mad_u64_u32 v[52:53], s[4:5], s3, v61, v[52:53]
	v_lshlrev_b64 v[50:51], 4, v[56:57]
	v_add_u32_e32 v56, 0x405, v60
	v_mov_b32_e32 v59, v52
	v_mad_u64_u32 v[52:53], s[4:5], s2, v54, 0
	v_add_co_u32_e32 v50, vcc, v48, v50
	v_addc_co_u32_e32 v51, vcc, v49, v51, vcc
	v_mad_u64_u32 v[53:54], s[4:5], s3, v54, v[53:54]
	global_store_dwordx4 v[50:51], v[138:141], off
	v_lshlrev_b64 v[50:51], 4, v[58:59]
	v_mad_u64_u32 v[54:55], s[4:5], s2, v56, 0
	v_add_co_u32_e32 v50, vcc, v48, v50
	v_addc_co_u32_e32 v51, vcc, v49, v51, vcc
	global_store_dwordx4 v[50:51], v[176:179], off
	v_lshlrev_b64 v[50:51], 4, v[52:53]
	v_mov_b32_e32 v52, v55
	v_mad_u64_u32 v[52:53], s[4:5], s3, v56, v[52:53]
	v_add_co_u32_e32 v50, vcc, v48, v50
	v_addc_co_u32_e32 v51, vcc, v49, v51, vcc
	v_mov_b32_e32 v55, v52
	global_store_dwordx4 v[50:51], v[172:175], off
	v_lshlrev_b64 v[50:51], 4, v[54:55]
	v_add_u32_e32 v54, 0x55c, v60
	v_mad_u64_u32 v[52:53], s[4:5], s2, v54, 0
	v_add_u32_e32 v56, 0x6b3, v60
	v_add_co_u32_e32 v50, vcc, v48, v50
	v_mad_u64_u32 v[53:54], s[4:5], s3, v54, v[53:54]
	v_mad_u64_u32 v[54:55], s[4:5], s2, v56, 0
	v_addc_co_u32_e32 v51, vcc, v49, v51, vcc
	global_store_dwordx4 v[50:51], v[168:171], off
	v_lshlrev_b64 v[50:51], 4, v[52:53]
	v_mov_b32_e32 v52, v55
	v_mad_u64_u32 v[52:53], s[4:5], s3, v56, v[52:53]
	v_add_co_u32_e32 v50, vcc, v48, v50
	v_addc_co_u32_e32 v51, vcc, v49, v51, vcc
	v_mov_b32_e32 v55, v52
	global_store_dwordx4 v[50:51], v[164:167], off
	v_lshlrev_b64 v[50:51], 4, v[54:55]
	v_add_u32_e32 v54, 0x80a, v60
	v_mad_u64_u32 v[52:53], s[4:5], s2, v54, 0
	v_add_co_u32_e32 v50, vcc, v48, v50
	v_mad_u64_u32 v[53:54], s[4:5], s3, v54, v[53:54]
	v_add_u32_e32 v54, 0x93, v204
	v_mul_hi_u32 v55, v54, s0
	v_addc_co_u32_e32 v51, vcc, v49, v51, vcc
	global_store_dwordx4 v[50:51], v[160:163], off
	v_lshlrev_b64 v[50:51], 4, v[52:53]
	v_lshrrev_b32_e32 v52, 8, v55
	v_mul_u32_u24_e32 v53, 0x157, v52
	v_sub_u32_e32 v53, v54, v53
	v_mad_u32_u24 v56, v52, s1, v53
	v_mad_u64_u32 v[52:53], s[4:5], s2, v56, 0
	v_add_u32_e32 v57, 0x157, v56
	v_add_co_u32_e32 v50, vcc, v48, v50
	v_mad_u64_u32 v[53:54], s[4:5], s3, v56, v[53:54]
	v_mad_u64_u32 v[54:55], s[4:5], s2, v57, 0
	v_addc_co_u32_e32 v51, vcc, v49, v51, vcc
	global_store_dwordx4 v[50:51], v[156:159], off
	v_lshlrev_b64 v[50:51], 4, v[52:53]
	v_mov_b32_e32 v52, v55
	v_mad_u64_u32 v[52:53], s[4:5], s3, v57, v[52:53]
	v_add_co_u32_e32 v50, vcc, v48, v50
	v_addc_co_u32_e32 v51, vcc, v49, v51, vcc
	v_mov_b32_e32 v55, v52
	global_store_dwordx4 v[50:51], v[152:155], off
	v_lshlrev_b64 v[50:51], 4, v[54:55]
	v_add_u32_e32 v54, 0x2ae, v56
	v_mad_u64_u32 v[52:53], s[4:5], s2, v54, 0
	v_add_u32_e32 v57, 0x405, v56
	v_add_co_u32_e32 v50, vcc, v48, v50
	v_mad_u64_u32 v[53:54], s[4:5], s3, v54, v[53:54]
	v_mad_u64_u32 v[54:55], s[4:5], s2, v57, 0
	v_addc_co_u32_e32 v51, vcc, v49, v51, vcc
	global_store_dwordx4 v[50:51], v[106:109], off
	v_lshlrev_b64 v[50:51], 4, v[52:53]
	v_mov_b32_e32 v52, v55
	v_mad_u64_u32 v[52:53], s[4:5], s3, v57, v[52:53]
	v_add_co_u32_e32 v50, vcc, v48, v50
	v_addc_co_u32_e32 v51, vcc, v49, v51, vcc
	v_mov_b32_e32 v55, v52
	global_store_dwordx4 v[50:51], v[94:97], off
	v_lshlrev_b64 v[50:51], 4, v[54:55]
	v_add_u32_e32 v54, 0x55c, v56
	;; [unrolled: 16-line block ×3, first 2 shown]
	v_mad_u64_u32 v[52:53], s[4:5], s2, v54, 0
	v_add_co_u32_e32 v50, vcc, v48, v50
	v_mad_u64_u32 v[53:54], s[4:5], s3, v54, v[53:54]
	v_add_u32_e32 v54, 0xc4, v204
	v_mul_hi_u32 v55, v54, s0
	v_addc_co_u32_e32 v51, vcc, v49, v51, vcc
	global_store_dwordx4 v[50:51], v[144:147], off
	v_lshlrev_b64 v[50:51], 4, v[52:53]
	v_lshrrev_b32_e32 v52, 8, v55
	v_mul_u32_u24_e32 v53, 0x157, v52
	v_sub_u32_e32 v53, v54, v53
	v_mad_u32_u24 v56, v52, s1, v53
	v_mad_u64_u32 v[52:53], s[4:5], s2, v56, 0
	v_add_u32_e32 v57, 0x157, v56
	v_add_co_u32_e32 v50, vcc, v48, v50
	v_mad_u64_u32 v[53:54], s[4:5], s3, v56, v[53:54]
	v_mad_u64_u32 v[54:55], s[4:5], s2, v57, 0
	v_addc_co_u32_e32 v51, vcc, v49, v51, vcc
	global_store_dwordx4 v[50:51], v[134:137], off
	v_lshlrev_b64 v[50:51], 4, v[52:53]
	v_mov_b32_e32 v52, v55
	v_mad_u64_u32 v[52:53], s[4:5], s3, v57, v[52:53]
	v_add_co_u32_e32 v50, vcc, v48, v50
	v_addc_co_u32_e32 v51, vcc, v49, v51, vcc
	v_mov_b32_e32 v55, v52
	global_store_dwordx4 v[50:51], v[116:119], off
	v_lshlrev_b64 v[50:51], 4, v[54:55]
	v_add_u32_e32 v54, 0x2ae, v56
	v_mad_u64_u32 v[52:53], s[4:5], s2, v54, 0
	v_add_u32_e32 v57, 0x405, v56
	v_add_co_u32_e32 v50, vcc, v48, v50
	v_mad_u64_u32 v[53:54], s[4:5], s3, v54, v[53:54]
	v_mad_u64_u32 v[54:55], s[4:5], s2, v57, 0
	v_addc_co_u32_e32 v51, vcc, v49, v51, vcc
	global_store_dwordx4 v[50:51], v[128:131], off
	v_lshlrev_b64 v[50:51], 4, v[52:53]
	v_mov_b32_e32 v52, v55
	v_mad_u64_u32 v[52:53], s[4:5], s3, v57, v[52:53]
	v_add_co_u32_e32 v50, vcc, v48, v50
	v_addc_co_u32_e32 v51, vcc, v49, v51, vcc
	v_mov_b32_e32 v55, v52
	global_store_dwordx4 v[50:51], v[124:127], off
	v_lshlrev_b64 v[50:51], 4, v[54:55]
	v_add_u32_e32 v54, 0x55c, v56
	;; [unrolled: 16-line block ×3, first 2 shown]
	v_mad_u64_u32 v[52:53], s[4:5], s2, v54, 0
	v_add_co_u32_e32 v50, vcc, v48, v50
	v_mad_u64_u32 v[53:54], s[4:5], s3, v54, v[53:54]
	v_add_u32_e32 v54, 0xf5, v204
	v_mul_hi_u32 v55, v54, s0
	v_addc_co_u32_e32 v51, vcc, v49, v51, vcc
	global_store_dwordx4 v[50:51], v[100:103], off
	v_lshlrev_b64 v[50:51], 4, v[52:53]
	v_lshrrev_b32_e32 v52, 8, v55
	v_mul_u32_u24_e32 v53, 0x157, v52
	v_sub_u32_e32 v53, v54, v53
	v_mad_u32_u24 v56, v52, s1, v53
	v_mad_u64_u32 v[52:53], s[4:5], s2, v56, 0
	v_add_co_u32_e32 v50, vcc, v48, v50
	v_mad_u64_u32 v[53:54], s[4:5], s3, v56, v[53:54]
	v_addc_co_u32_e32 v51, vcc, v49, v51, vcc
	v_add_u32_e32 v57, 0x157, v56
	v_mad_u64_u32 v[54:55], s[4:5], s2, v57, 0
	global_store_dwordx4 v[50:51], v[80:83], off
	v_lshlrev_b64 v[50:51], 4, v[52:53]
	v_mov_b32_e32 v52, v55
	v_add_co_u32_e32 v50, vcc, v48, v50
	v_addc_co_u32_e32 v51, vcc, v49, v51, vcc
	global_store_dwordx4 v[50:51], v[36:39], off
	v_add_u32_e32 v50, 0x2ae, v56
	v_mad_u64_u32 v[52:53], s[4:5], s3, v57, v[52:53]
	v_mad_u64_u32 v[38:39], s[4:5], s2, v50, 0
	v_mov_b32_e32 v55, v52
	v_add_u32_e32 v53, 0x405, v56
	v_mad_u64_u32 v[50:51], s[4:5], s3, v50, v[39:40]
	v_lshlrev_b64 v[36:37], 4, v[54:55]
	v_mad_u64_u32 v[51:52], s[4:5], s2, v53, 0
	v_add_co_u32_e32 v36, vcc, v48, v36
	v_addc_co_u32_e32 v37, vcc, v49, v37, vcc
	v_mov_b32_e32 v39, v50
	global_store_dwordx4 v[36:37], v[72:75], off
	v_lshlrev_b64 v[36:37], 4, v[38:39]
	v_mov_b32_e32 v38, v52
	v_mad_u64_u32 v[38:39], s[4:5], s3, v53, v[38:39]
	v_add_u32_e32 v50, 0x55c, v56
	v_add_co_u32_e32 v36, vcc, v48, v36
	v_mov_b32_e32 v52, v38
	v_mad_u64_u32 v[38:39], s[4:5], s2, v50, 0
	v_addc_co_u32_e32 v37, vcc, v49, v37, vcc
	global_store_dwordx4 v[36:37], v[68:71], off
	v_lshlrev_b64 v[36:37], 4, v[51:52]
	v_mad_u64_u32 v[50:51], s[4:5], s3, v50, v[39:40]
	v_add_u32_e32 v53, 0x6b3, v56
	v_mad_u64_u32 v[51:52], s[4:5], s2, v53, 0
	v_add_co_u32_e32 v36, vcc, v48, v36
	v_addc_co_u32_e32 v37, vcc, v49, v37, vcc
	v_mov_b32_e32 v39, v50
	global_store_dwordx4 v[36:37], v[44:47], off
	v_lshlrev_b64 v[36:37], 4, v[38:39]
	v_mov_b32_e32 v38, v52
	v_mad_u64_u32 v[38:39], s[4:5], s3, v53, v[38:39]
	v_add_co_u32_e32 v36, vcc, v48, v36
	v_addc_co_u32_e32 v37, vcc, v49, v37, vcc
	global_store_dwordx4 v[36:37], v[40:43], off
	v_mov_b32_e32 v52, v38
	v_add_u32_e32 v40, 0x80a, v56
	v_mad_u64_u32 v[38:39], s[4:5], s2, v40, 0
	v_add_u32_e32 v41, 0x126, v204
	v_mul_hi_u32 v42, v41, s0
	v_mad_u64_u32 v[39:40], s[4:5], s3, v40, v[39:40]
	v_lshlrev_b64 v[36:37], 4, v[51:52]
	v_lshrrev_b32_e32 v40, 8, v42
	v_mul_u32_u24_e32 v42, 0x157, v40
	v_add_co_u32_e32 v36, vcc, v48, v36
	v_sub_u32_e32 v41, v41, v42
	v_addc_co_u32_e32 v37, vcc, v49, v37, vcc
	v_mad_u32_u24 v42, v40, s1, v41
	v_mad_u64_u32 v[40:41], s[0:1], s2, v42, 0
	global_store_dwordx4 v[36:37], v[32:35], off
	s_nop 0
	v_lshlrev_b64 v[32:33], 4, v[38:39]
	v_mov_b32_e32 v34, v41
	v_add_co_u32_e32 v32, vcc, v48, v32
	v_addc_co_u32_e32 v33, vcc, v49, v33, vcc
	global_store_dwordx4 v[32:33], v[28:31], off
	v_add_u32_e32 v32, 0x157, v42
	v_mad_u64_u32 v[34:35], s[0:1], s3, v42, v[34:35]
	v_mad_u64_u32 v[30:31], s[0:1], s2, v32, 0
	v_mov_b32_e32 v41, v34
	v_add_u32_e32 v34, 0x2ae, v42
	v_mad_u64_u32 v[31:32], s[0:1], s3, v32, v[31:32]
	v_lshlrev_b64 v[28:29], 4, v[40:41]
	v_mad_u64_u32 v[32:33], s[0:1], s2, v34, 0
	v_add_co_u32_e32 v28, vcc, v48, v28
	v_addc_co_u32_e32 v29, vcc, v49, v29, vcc
	global_store_dwordx4 v[28:29], v[12:15], off
	s_nop 0
	v_lshlrev_b64 v[12:13], 4, v[30:31]
	v_mov_b32_e32 v14, v33
	v_mad_u64_u32 v[14:15], s[0:1], s3, v34, v[14:15]
	v_add_co_u32_e32 v12, vcc, v48, v12
	v_addc_co_u32_e32 v13, vcc, v49, v13, vcc
	global_store_dwordx4 v[12:13], v[24:27], off
	v_mov_b32_e32 v33, v14
	v_add_u32_e32 v24, 0x405, v42
	v_mad_u64_u32 v[14:15], s[0:1], s2, v24, 0
	v_add_u32_e32 v27, 0x55c, v42
	v_lshlrev_b64 v[12:13], 4, v[32:33]
	v_mad_u64_u32 v[24:25], s[0:1], s3, v24, v[15:16]
	v_mad_u64_u32 v[25:26], s[0:1], s2, v27, 0
	v_add_co_u32_e32 v12, vcc, v48, v12
	v_addc_co_u32_e32 v13, vcc, v49, v13, vcc
	v_mov_b32_e32 v15, v24
	global_store_dwordx4 v[12:13], v[20:23], off
	v_lshlrev_b64 v[12:13], 4, v[14:15]
	v_mov_b32_e32 v14, v26
	v_mad_u64_u32 v[14:15], s[0:1], s3, v27, v[14:15]
	v_add_co_u32_e32 v12, vcc, v48, v12
	v_addc_co_u32_e32 v13, vcc, v49, v13, vcc
	global_store_dwordx4 v[12:13], v[16:19], off
	v_mov_b32_e32 v26, v14
	v_add_u32_e32 v16, 0x6b3, v42
	v_mad_u64_u32 v[14:15], s[0:1], s2, v16, 0
	v_add_u32_e32 v18, 0x80a, v42
	v_lshlrev_b64 v[12:13], 4, v[25:26]
	v_mad_u64_u32 v[15:16], s[0:1], s3, v16, v[15:16]
	v_mad_u64_u32 v[16:17], s[0:1], s2, v18, 0
	v_add_co_u32_e32 v12, vcc, v48, v12
	v_addc_co_u32_e32 v13, vcc, v49, v13, vcc
	global_store_dwordx4 v[12:13], v[8:11], off
	s_nop 0
	v_mov_b32_e32 v10, v17
	v_mad_u64_u32 v[10:11], s[0:1], s3, v18, v[10:11]
	v_lshlrev_b64 v[8:9], 4, v[14:15]
	v_add_co_u32_e32 v8, vcc, v48, v8
	v_addc_co_u32_e32 v9, vcc, v49, v9, vcc
	v_mov_b32_e32 v17, v10
	global_store_dwordx4 v[8:9], v[4:7], off
	s_nop 0
	v_lshlrev_b64 v[4:5], 4, v[16:17]
	v_add_co_u32_e32 v4, vcc, v48, v4
	v_addc_co_u32_e32 v5, vcc, v49, v5, vcc
	global_store_dwordx4 v[4:5], v[0:3], off
.LBB0_15:
	s_endpgm
	.section	.rodata,"a",@progbits
	.p2align	6, 0x0
	.amdhsa_kernel fft_rtc_fwd_len2401_factors_7_7_7_7_wgs_49_tpt_49_halfLds_dp_op_CI_CI_sbrr_dirReg
		.amdhsa_group_segment_fixed_size 0
		.amdhsa_private_segment_fixed_size 56
		.amdhsa_kernarg_size 104
		.amdhsa_user_sgpr_count 6
		.amdhsa_user_sgpr_private_segment_buffer 1
		.amdhsa_user_sgpr_dispatch_ptr 0
		.amdhsa_user_sgpr_queue_ptr 0
		.amdhsa_user_sgpr_kernarg_segment_ptr 1
		.amdhsa_user_sgpr_dispatch_id 0
		.amdhsa_user_sgpr_flat_scratch_init 0
		.amdhsa_user_sgpr_private_segment_size 0
		.amdhsa_uses_dynamic_stack 0
		.amdhsa_system_sgpr_private_segment_wavefront_offset 1
		.amdhsa_system_sgpr_workgroup_id_x 1
		.amdhsa_system_sgpr_workgroup_id_y 0
		.amdhsa_system_sgpr_workgroup_id_z 0
		.amdhsa_system_sgpr_workgroup_info 0
		.amdhsa_system_vgpr_workitem_id 0
		.amdhsa_next_free_vgpr 256
		.amdhsa_next_free_sgpr 40
		.amdhsa_reserve_vcc 1
		.amdhsa_reserve_flat_scratch 0
		.amdhsa_float_round_mode_32 0
		.amdhsa_float_round_mode_16_64 0
		.amdhsa_float_denorm_mode_32 3
		.amdhsa_float_denorm_mode_16_64 3
		.amdhsa_dx10_clamp 1
		.amdhsa_ieee_mode 1
		.amdhsa_fp16_overflow 0
		.amdhsa_exception_fp_ieee_invalid_op 0
		.amdhsa_exception_fp_denorm_src 0
		.amdhsa_exception_fp_ieee_div_zero 0
		.amdhsa_exception_fp_ieee_overflow 0
		.amdhsa_exception_fp_ieee_underflow 0
		.amdhsa_exception_fp_ieee_inexact 0
		.amdhsa_exception_int_div_zero 0
	.end_amdhsa_kernel
	.text
.Lfunc_end0:
	.size	fft_rtc_fwd_len2401_factors_7_7_7_7_wgs_49_tpt_49_halfLds_dp_op_CI_CI_sbrr_dirReg, .Lfunc_end0-fft_rtc_fwd_len2401_factors_7_7_7_7_wgs_49_tpt_49_halfLds_dp_op_CI_CI_sbrr_dirReg
                                        ; -- End function
	.section	.AMDGPU.csdata,"",@progbits
; Kernel info:
; codeLenInByte = 35824
; NumSgprs: 44
; NumVgprs: 256
; ScratchSize: 56
; MemoryBound: 1
; FloatMode: 240
; IeeeMode: 1
; LDSByteSize: 0 bytes/workgroup (compile time only)
; SGPRBlocks: 5
; VGPRBlocks: 63
; NumSGPRsForWavesPerEU: 44
; NumVGPRsForWavesPerEU: 256
; Occupancy: 1
; WaveLimiterHint : 1
; COMPUTE_PGM_RSRC2:SCRATCH_EN: 1
; COMPUTE_PGM_RSRC2:USER_SGPR: 6
; COMPUTE_PGM_RSRC2:TRAP_HANDLER: 0
; COMPUTE_PGM_RSRC2:TGID_X_EN: 1
; COMPUTE_PGM_RSRC2:TGID_Y_EN: 0
; COMPUTE_PGM_RSRC2:TGID_Z_EN: 0
; COMPUTE_PGM_RSRC2:TIDIG_COMP_CNT: 0
	.type	__hip_cuid_a4c4dd86cb186000,@object ; @__hip_cuid_a4c4dd86cb186000
	.section	.bss,"aw",@nobits
	.globl	__hip_cuid_a4c4dd86cb186000
__hip_cuid_a4c4dd86cb186000:
	.byte	0                               ; 0x0
	.size	__hip_cuid_a4c4dd86cb186000, 1

	.ident	"AMD clang version 19.0.0git (https://github.com/RadeonOpenCompute/llvm-project roc-6.4.0 25133 c7fe45cf4b819c5991fe208aaa96edf142730f1d)"
	.section	".note.GNU-stack","",@progbits
	.addrsig
	.addrsig_sym __hip_cuid_a4c4dd86cb186000
	.amdgpu_metadata
---
amdhsa.kernels:
  - .args:
      - .actual_access:  read_only
        .address_space:  global
        .offset:         0
        .size:           8
        .value_kind:     global_buffer
      - .offset:         8
        .size:           8
        .value_kind:     by_value
      - .actual_access:  read_only
        .address_space:  global
        .offset:         16
        .size:           8
        .value_kind:     global_buffer
      - .actual_access:  read_only
        .address_space:  global
        .offset:         24
        .size:           8
        .value_kind:     global_buffer
      - .actual_access:  read_only
        .address_space:  global
        .offset:         32
        .size:           8
        .value_kind:     global_buffer
      - .offset:         40
        .size:           8
        .value_kind:     by_value
      - .actual_access:  read_only
        .address_space:  global
        .offset:         48
        .size:           8
        .value_kind:     global_buffer
      - .actual_access:  read_only
        .address_space:  global
        .offset:         56
        .size:           8
        .value_kind:     global_buffer
      - .offset:         64
        .size:           4
        .value_kind:     by_value
      - .actual_access:  read_only
        .address_space:  global
        .offset:         72
        .size:           8
        .value_kind:     global_buffer
      - .actual_access:  read_only
        .address_space:  global
        .offset:         80
        .size:           8
        .value_kind:     global_buffer
      - .actual_access:  read_only
        .address_space:  global
        .offset:         88
        .size:           8
        .value_kind:     global_buffer
      - .actual_access:  write_only
        .address_space:  global
        .offset:         96
        .size:           8
        .value_kind:     global_buffer
    .group_segment_fixed_size: 0
    .kernarg_segment_align: 8
    .kernarg_segment_size: 104
    .language:       OpenCL C
    .language_version:
      - 2
      - 0
    .max_flat_workgroup_size: 49
    .name:           fft_rtc_fwd_len2401_factors_7_7_7_7_wgs_49_tpt_49_halfLds_dp_op_CI_CI_sbrr_dirReg
    .private_segment_fixed_size: 56
    .sgpr_count:     44
    .sgpr_spill_count: 0
    .symbol:         fft_rtc_fwd_len2401_factors_7_7_7_7_wgs_49_tpt_49_halfLds_dp_op_CI_CI_sbrr_dirReg.kd
    .uniform_work_group_size: 1
    .uses_dynamic_stack: false
    .vgpr_count:     256
    .vgpr_spill_count: 18
    .wavefront_size: 64
amdhsa.target:   amdgcn-amd-amdhsa--gfx906
amdhsa.version:
  - 1
  - 2
...

	.end_amdgpu_metadata
